;; amdgpu-corpus repo=ROCm/rocFFT kind=compiled arch=gfx1100 opt=O3
	.text
	.amdgcn_target "amdgcn-amd-amdhsa--gfx1100"
	.amdhsa_code_object_version 6
	.protected	fft_rtc_back_len1666_factors_17_2_7_7_wgs_119_tpt_119_halfLds_dp_op_CI_CI_unitstride_sbrr_C2R_dirReg ; -- Begin function fft_rtc_back_len1666_factors_17_2_7_7_wgs_119_tpt_119_halfLds_dp_op_CI_CI_unitstride_sbrr_C2R_dirReg
	.globl	fft_rtc_back_len1666_factors_17_2_7_7_wgs_119_tpt_119_halfLds_dp_op_CI_CI_unitstride_sbrr_C2R_dirReg
	.p2align	8
	.type	fft_rtc_back_len1666_factors_17_2_7_7_wgs_119_tpt_119_halfLds_dp_op_CI_CI_unitstride_sbrr_C2R_dirReg,@function
fft_rtc_back_len1666_factors_17_2_7_7_wgs_119_tpt_119_halfLds_dp_op_CI_CI_unitstride_sbrr_C2R_dirReg: ; @fft_rtc_back_len1666_factors_17_2_7_7_wgs_119_tpt_119_halfLds_dp_op_CI_CI_unitstride_sbrr_C2R_dirReg
; %bb.0:
	s_clause 0x2
	s_load_b128 s[8:11], s[0:1], 0x0
	s_load_b128 s[4:7], s[0:1], 0x58
	;; [unrolled: 1-line block ×3, first 2 shown]
	v_mul_u32_u24_e32 v1, 0x227, v0
	v_mov_b32_e32 v3, 0
	s_delay_alu instid0(VALU_DEP_2) | instskip(NEXT) | instid1(VALU_DEP_1)
	v_lshrrev_b32_e32 v1, 16, v1
	v_add_nc_u32_e32 v5, s15, v1
	v_mov_b32_e32 v1, 0
	v_mov_b32_e32 v2, 0
	;; [unrolled: 1-line block ×3, first 2 shown]
	s_waitcnt lgkmcnt(0)
	v_cmp_lt_u64_e64 s2, s[10:11], 2
	s_delay_alu instid0(VALU_DEP_1)
	s_and_b32 vcc_lo, exec_lo, s2
	s_cbranch_vccnz .LBB0_8
; %bb.1:
	s_load_b64 s[2:3], s[0:1], 0x10
	v_mov_b32_e32 v1, 0
	v_mov_b32_e32 v2, 0
	s_add_u32 s12, s18, 8
	s_addc_u32 s13, s19, 0
	s_add_u32 s14, s16, 8
	s_addc_u32 s15, s17, 0
	v_dual_mov_b32 v69, v2 :: v_dual_mov_b32 v68, v1
	s_mov_b64 s[22:23], 1
	s_waitcnt lgkmcnt(0)
	s_add_u32 s20, s2, 8
	s_addc_u32 s21, s3, 0
.LBB0_2:                                ; =>This Inner Loop Header: Depth=1
	s_load_b64 s[24:25], s[20:21], 0x0
                                        ; implicit-def: $vgpr72_vgpr73
	s_mov_b32 s2, exec_lo
	s_waitcnt lgkmcnt(0)
	v_or_b32_e32 v4, s25, v6
	s_delay_alu instid0(VALU_DEP_1)
	v_cmpx_ne_u64_e32 0, v[3:4]
	s_xor_b32 s3, exec_lo, s2
	s_cbranch_execz .LBB0_4
; %bb.3:                                ;   in Loop: Header=BB0_2 Depth=1
	v_cvt_f32_u32_e32 v4, s24
	v_cvt_f32_u32_e32 v7, s25
	s_sub_u32 s2, 0, s24
	s_subb_u32 s26, 0, s25
	s_delay_alu instid0(VALU_DEP_1) | instskip(NEXT) | instid1(VALU_DEP_1)
	v_fmac_f32_e32 v4, 0x4f800000, v7
	v_rcp_f32_e32 v4, v4
	s_waitcnt_depctr 0xfff
	v_mul_f32_e32 v4, 0x5f7ffffc, v4
	s_delay_alu instid0(VALU_DEP_1) | instskip(NEXT) | instid1(VALU_DEP_1)
	v_mul_f32_e32 v7, 0x2f800000, v4
	v_trunc_f32_e32 v7, v7
	s_delay_alu instid0(VALU_DEP_1) | instskip(SKIP_1) | instid1(VALU_DEP_2)
	v_fmac_f32_e32 v4, 0xcf800000, v7
	v_cvt_u32_f32_e32 v7, v7
	v_cvt_u32_f32_e32 v4, v4
	s_delay_alu instid0(VALU_DEP_2) | instskip(NEXT) | instid1(VALU_DEP_2)
	v_mul_lo_u32 v8, s2, v7
	v_mul_hi_u32 v9, s2, v4
	v_mul_lo_u32 v10, s26, v4
	s_delay_alu instid0(VALU_DEP_2) | instskip(SKIP_1) | instid1(VALU_DEP_2)
	v_add_nc_u32_e32 v8, v9, v8
	v_mul_lo_u32 v9, s2, v4
	v_add_nc_u32_e32 v8, v8, v10
	s_delay_alu instid0(VALU_DEP_2) | instskip(NEXT) | instid1(VALU_DEP_2)
	v_mul_hi_u32 v10, v4, v9
	v_mul_lo_u32 v11, v4, v8
	v_mul_hi_u32 v12, v4, v8
	v_mul_hi_u32 v13, v7, v9
	v_mul_lo_u32 v9, v7, v9
	v_mul_hi_u32 v14, v7, v8
	v_mul_lo_u32 v8, v7, v8
	v_add_co_u32 v10, vcc_lo, v10, v11
	v_add_co_ci_u32_e32 v11, vcc_lo, 0, v12, vcc_lo
	s_delay_alu instid0(VALU_DEP_2) | instskip(NEXT) | instid1(VALU_DEP_2)
	v_add_co_u32 v9, vcc_lo, v10, v9
	v_add_co_ci_u32_e32 v9, vcc_lo, v11, v13, vcc_lo
	v_add_co_ci_u32_e32 v10, vcc_lo, 0, v14, vcc_lo
	s_delay_alu instid0(VALU_DEP_2) | instskip(NEXT) | instid1(VALU_DEP_2)
	v_add_co_u32 v8, vcc_lo, v9, v8
	v_add_co_ci_u32_e32 v9, vcc_lo, 0, v10, vcc_lo
	s_delay_alu instid0(VALU_DEP_2) | instskip(NEXT) | instid1(VALU_DEP_2)
	v_add_co_u32 v4, vcc_lo, v4, v8
	v_add_co_ci_u32_e32 v7, vcc_lo, v7, v9, vcc_lo
	s_delay_alu instid0(VALU_DEP_2) | instskip(SKIP_1) | instid1(VALU_DEP_3)
	v_mul_hi_u32 v8, s2, v4
	v_mul_lo_u32 v10, s26, v4
	v_mul_lo_u32 v9, s2, v7
	s_delay_alu instid0(VALU_DEP_1) | instskip(SKIP_1) | instid1(VALU_DEP_2)
	v_add_nc_u32_e32 v8, v8, v9
	v_mul_lo_u32 v9, s2, v4
	v_add_nc_u32_e32 v8, v8, v10
	s_delay_alu instid0(VALU_DEP_2) | instskip(NEXT) | instid1(VALU_DEP_2)
	v_mul_hi_u32 v10, v4, v9
	v_mul_lo_u32 v11, v4, v8
	v_mul_hi_u32 v12, v4, v8
	v_mul_hi_u32 v13, v7, v9
	v_mul_lo_u32 v9, v7, v9
	v_mul_hi_u32 v14, v7, v8
	v_mul_lo_u32 v8, v7, v8
	v_add_co_u32 v10, vcc_lo, v10, v11
	v_add_co_ci_u32_e32 v11, vcc_lo, 0, v12, vcc_lo
	s_delay_alu instid0(VALU_DEP_2) | instskip(NEXT) | instid1(VALU_DEP_2)
	v_add_co_u32 v9, vcc_lo, v10, v9
	v_add_co_ci_u32_e32 v9, vcc_lo, v11, v13, vcc_lo
	v_add_co_ci_u32_e32 v10, vcc_lo, 0, v14, vcc_lo
	s_delay_alu instid0(VALU_DEP_2) | instskip(NEXT) | instid1(VALU_DEP_2)
	v_add_co_u32 v8, vcc_lo, v9, v8
	v_add_co_ci_u32_e32 v9, vcc_lo, 0, v10, vcc_lo
	s_delay_alu instid0(VALU_DEP_2) | instskip(NEXT) | instid1(VALU_DEP_2)
	v_add_co_u32 v4, vcc_lo, v4, v8
	v_add_co_ci_u32_e32 v13, vcc_lo, v7, v9, vcc_lo
	s_delay_alu instid0(VALU_DEP_2) | instskip(SKIP_1) | instid1(VALU_DEP_3)
	v_mul_hi_u32 v14, v5, v4
	v_mad_u64_u32 v[9:10], null, v6, v4, 0
	v_mad_u64_u32 v[7:8], null, v5, v13, 0
	;; [unrolled: 1-line block ×3, first 2 shown]
	s_delay_alu instid0(VALU_DEP_2) | instskip(NEXT) | instid1(VALU_DEP_3)
	v_add_co_u32 v4, vcc_lo, v14, v7
	v_add_co_ci_u32_e32 v7, vcc_lo, 0, v8, vcc_lo
	s_delay_alu instid0(VALU_DEP_2) | instskip(NEXT) | instid1(VALU_DEP_2)
	v_add_co_u32 v4, vcc_lo, v4, v9
	v_add_co_ci_u32_e32 v4, vcc_lo, v7, v10, vcc_lo
	v_add_co_ci_u32_e32 v7, vcc_lo, 0, v12, vcc_lo
	s_delay_alu instid0(VALU_DEP_2) | instskip(NEXT) | instid1(VALU_DEP_2)
	v_add_co_u32 v4, vcc_lo, v4, v11
	v_add_co_ci_u32_e32 v9, vcc_lo, 0, v7, vcc_lo
	s_delay_alu instid0(VALU_DEP_2) | instskip(SKIP_1) | instid1(VALU_DEP_3)
	v_mul_lo_u32 v10, s25, v4
	v_mad_u64_u32 v[7:8], null, s24, v4, 0
	v_mul_lo_u32 v11, s24, v9
	s_delay_alu instid0(VALU_DEP_2) | instskip(NEXT) | instid1(VALU_DEP_2)
	v_sub_co_u32 v7, vcc_lo, v5, v7
	v_add3_u32 v8, v8, v11, v10
	s_delay_alu instid0(VALU_DEP_1) | instskip(NEXT) | instid1(VALU_DEP_1)
	v_sub_nc_u32_e32 v10, v6, v8
	v_subrev_co_ci_u32_e64 v10, s2, s25, v10, vcc_lo
	v_add_co_u32 v11, s2, v4, 2
	s_delay_alu instid0(VALU_DEP_1) | instskip(SKIP_3) | instid1(VALU_DEP_3)
	v_add_co_ci_u32_e64 v12, s2, 0, v9, s2
	v_sub_co_u32 v13, s2, v7, s24
	v_sub_co_ci_u32_e32 v8, vcc_lo, v6, v8, vcc_lo
	v_subrev_co_ci_u32_e64 v10, s2, 0, v10, s2
	v_cmp_le_u32_e32 vcc_lo, s24, v13
	s_delay_alu instid0(VALU_DEP_3) | instskip(SKIP_1) | instid1(VALU_DEP_4)
	v_cmp_eq_u32_e64 s2, s25, v8
	v_cndmask_b32_e64 v13, 0, -1, vcc_lo
	v_cmp_le_u32_e32 vcc_lo, s25, v10
	v_cndmask_b32_e64 v14, 0, -1, vcc_lo
	v_cmp_le_u32_e32 vcc_lo, s24, v7
	;; [unrolled: 2-line block ×3, first 2 shown]
	v_cndmask_b32_e64 v15, 0, -1, vcc_lo
	v_cmp_eq_u32_e32 vcc_lo, s25, v10
	s_delay_alu instid0(VALU_DEP_2) | instskip(SKIP_3) | instid1(VALU_DEP_3)
	v_cndmask_b32_e64 v7, v15, v7, s2
	v_cndmask_b32_e32 v10, v14, v13, vcc_lo
	v_add_co_u32 v13, vcc_lo, v4, 1
	v_add_co_ci_u32_e32 v14, vcc_lo, 0, v9, vcc_lo
	v_cmp_ne_u32_e32 vcc_lo, 0, v10
	s_delay_alu instid0(VALU_DEP_2) | instskip(NEXT) | instid1(VALU_DEP_4)
	v_cndmask_b32_e32 v8, v14, v12, vcc_lo
	v_cndmask_b32_e32 v10, v13, v11, vcc_lo
	v_cmp_ne_u32_e32 vcc_lo, 0, v7
	s_delay_alu instid0(VALU_DEP_2)
	v_dual_cndmask_b32 v73, v9, v8 :: v_dual_cndmask_b32 v72, v4, v10
.LBB0_4:                                ;   in Loop: Header=BB0_2 Depth=1
	s_and_not1_saveexec_b32 s2, s3
	s_cbranch_execz .LBB0_6
; %bb.5:                                ;   in Loop: Header=BB0_2 Depth=1
	v_cvt_f32_u32_e32 v4, s24
	s_sub_i32 s3, 0, s24
	v_mov_b32_e32 v73, v3
	s_delay_alu instid0(VALU_DEP_2) | instskip(SKIP_2) | instid1(VALU_DEP_1)
	v_rcp_iflag_f32_e32 v4, v4
	s_waitcnt_depctr 0xfff
	v_mul_f32_e32 v4, 0x4f7ffffe, v4
	v_cvt_u32_f32_e32 v4, v4
	s_delay_alu instid0(VALU_DEP_1) | instskip(NEXT) | instid1(VALU_DEP_1)
	v_mul_lo_u32 v7, s3, v4
	v_mul_hi_u32 v7, v4, v7
	s_delay_alu instid0(VALU_DEP_1) | instskip(NEXT) | instid1(VALU_DEP_1)
	v_add_nc_u32_e32 v4, v4, v7
	v_mul_hi_u32 v4, v5, v4
	s_delay_alu instid0(VALU_DEP_1) | instskip(SKIP_1) | instid1(VALU_DEP_2)
	v_mul_lo_u32 v7, v4, s24
	v_add_nc_u32_e32 v8, 1, v4
	v_sub_nc_u32_e32 v7, v5, v7
	s_delay_alu instid0(VALU_DEP_1) | instskip(SKIP_1) | instid1(VALU_DEP_2)
	v_subrev_nc_u32_e32 v9, s24, v7
	v_cmp_le_u32_e32 vcc_lo, s24, v7
	v_dual_cndmask_b32 v7, v7, v9 :: v_dual_cndmask_b32 v4, v4, v8
	s_delay_alu instid0(VALU_DEP_1) | instskip(NEXT) | instid1(VALU_DEP_2)
	v_cmp_le_u32_e32 vcc_lo, s24, v7
	v_add_nc_u32_e32 v8, 1, v4
	s_delay_alu instid0(VALU_DEP_1)
	v_cndmask_b32_e32 v72, v4, v8, vcc_lo
.LBB0_6:                                ;   in Loop: Header=BB0_2 Depth=1
	s_or_b32 exec_lo, exec_lo, s2
	s_delay_alu instid0(VALU_DEP_1) | instskip(NEXT) | instid1(VALU_DEP_2)
	v_mul_lo_u32 v4, v73, s24
	v_mul_lo_u32 v9, v72, s25
	s_load_b64 s[2:3], s[14:15], 0x0
	v_mad_u64_u32 v[7:8], null, v72, s24, 0
	s_load_b64 s[24:25], s[12:13], 0x0
	s_add_u32 s22, s22, 1
	s_addc_u32 s23, s23, 0
	s_add_u32 s12, s12, 8
	s_addc_u32 s13, s13, 0
	s_add_u32 s14, s14, 8
	s_delay_alu instid0(VALU_DEP_1) | instskip(SKIP_3) | instid1(VALU_DEP_2)
	v_add3_u32 v4, v8, v9, v4
	v_sub_co_u32 v8, vcc_lo, v5, v7
	s_addc_u32 s15, s15, 0
	s_add_u32 s20, s20, 8
	v_sub_co_ci_u32_e32 v6, vcc_lo, v6, v4, vcc_lo
	s_addc_u32 s21, s21, 0
	s_waitcnt lgkmcnt(0)
	s_delay_alu instid0(VALU_DEP_1)
	v_mul_lo_u32 v9, s2, v6
	v_mul_lo_u32 v10, s3, v8
	v_mad_u64_u32 v[4:5], null, s2, v8, v[1:2]
	v_mul_lo_u32 v11, s24, v6
	v_mul_lo_u32 v12, s25, v8
	v_mad_u64_u32 v[6:7], null, s24, v8, v[68:69]
	v_cmp_ge_u64_e64 s2, s[22:23], s[10:11]
	v_add3_u32 v2, v10, v5, v9
	s_delay_alu instid0(VALU_DEP_3) | instskip(NEXT) | instid1(VALU_DEP_4)
	v_dual_mov_b32 v1, v4 :: v_dual_mov_b32 v68, v6
	v_add3_u32 v69, v12, v7, v11
	s_delay_alu instid0(VALU_DEP_4)
	s_and_b32 vcc_lo, exec_lo, s2
	s_cbranch_vccnz .LBB0_9
; %bb.7:                                ;   in Loop: Header=BB0_2 Depth=1
	v_dual_mov_b32 v5, v72 :: v_dual_mov_b32 v6, v73
	s_branch .LBB0_2
.LBB0_8:
	v_dual_mov_b32 v69, v2 :: v_dual_mov_b32 v68, v1
	v_dual_mov_b32 v73, v6 :: v_dual_mov_b32 v72, v5
.LBB0_9:
	s_load_b64 s[0:1], s[0:1], 0x28
	v_mul_hi_u32 v3, 0x226b903, v0
	s_lshl_b64 s[10:11], s[10:11], 3
                                        ; implicit-def: $vgpr70
	s_delay_alu instid0(SALU_CYCLE_1) | instskip(SKIP_4) | instid1(VALU_DEP_1)
	s_add_u32 s2, s18, s10
	s_addc_u32 s3, s19, s11
	s_waitcnt lgkmcnt(0)
	v_cmp_gt_u64_e32 vcc_lo, s[0:1], v[72:73]
	v_cmp_le_u64_e64 s0, s[0:1], v[72:73]
	s_and_saveexec_b32 s1, s0
	s_delay_alu instid0(SALU_CYCLE_1)
	s_xor_b32 s0, exec_lo, s1
; %bb.10:
	v_mul_u32_u24_e32 v1, 0x77, v3
                                        ; implicit-def: $vgpr3
	s_delay_alu instid0(VALU_DEP_1)
	v_sub_nc_u32_e32 v70, v0, v1
                                        ; implicit-def: $vgpr0
                                        ; implicit-def: $vgpr1_vgpr2
; %bb.11:
	s_or_saveexec_b32 s1, s0
	s_load_b64 s[2:3], s[2:3], 0x0
	s_xor_b32 exec_lo, exec_lo, s1
	s_cbranch_execz .LBB0_15
; %bb.12:
	s_add_u32 s10, s16, s10
	s_addc_u32 s11, s17, s11
	v_lshlrev_b64 v[1:2], 4, v[1:2]
	s_load_b64 s[10:11], s[10:11], 0x0
	s_waitcnt lgkmcnt(0)
	v_mul_lo_u32 v6, s11, v72
	v_mul_lo_u32 v7, s10, v73
	v_mad_u64_u32 v[4:5], null, s10, v72, 0
	s_delay_alu instid0(VALU_DEP_1) | instskip(SKIP_1) | instid1(VALU_DEP_2)
	v_add3_u32 v5, v5, v7, v6
	v_mul_u32_u24_e32 v6, 0x77, v3
	v_lshlrev_b64 v[3:4], 4, v[4:5]
	s_delay_alu instid0(VALU_DEP_2) | instskip(NEXT) | instid1(VALU_DEP_1)
	v_sub_nc_u32_e32 v70, v0, v6
	v_lshlrev_b32_e32 v58, 4, v70
	s_delay_alu instid0(VALU_DEP_3) | instskip(NEXT) | instid1(VALU_DEP_1)
	v_add_co_u32 v0, s0, s4, v3
	v_add_co_ci_u32_e64 v3, s0, s5, v4, s0
	s_mov_b32 s4, exec_lo
	s_delay_alu instid0(VALU_DEP_2) | instskip(NEXT) | instid1(VALU_DEP_1)
	v_add_co_u32 v0, s0, v0, v1
	v_add_co_ci_u32_e64 v1, s0, v3, v2, s0
	s_delay_alu instid0(VALU_DEP_2) | instskip(NEXT) | instid1(VALU_DEP_1)
	v_add_co_u32 v10, s0, v0, v58
	v_add_co_ci_u32_e64 v11, s0, 0, v1, s0
	s_clause 0x1
	global_load_b128 v[2:5], v[10:11], off
	global_load_b128 v[6:9], v[10:11], off offset:1904
	v_add_co_u32 v18, s0, 0x1000, v10
	s_delay_alu instid0(VALU_DEP_1) | instskip(SKIP_1) | instid1(VALU_DEP_1)
	v_add_co_ci_u32_e64 v19, s0, 0, v11, s0
	v_add_co_u32 v26, s0, 0x2000, v10
	v_add_co_ci_u32_e64 v27, s0, 0, v11, s0
	v_add_co_u32 v34, s0, 0x3000, v10
	s_delay_alu instid0(VALU_DEP_1) | instskip(SKIP_1) | instid1(VALU_DEP_1)
	v_add_co_ci_u32_e64 v35, s0, 0, v11, s0
	v_add_co_u32 v42, s0, 0x4000, v10
	v_add_co_ci_u32_e64 v43, s0, 0, v11, s0
	;; [unrolled: 5-line block ×3, first 2 shown]
	s_clause 0xb
	global_load_b128 v[10:13], v[10:11], off offset:3808
	global_load_b128 v[14:17], v[18:19], off offset:1616
	;; [unrolled: 1-line block ×12, first 2 shown]
	v_add_nc_u32_e32 v58, 0, v58
	s_waitcnt vmcnt(13)
	ds_store_b128 v58, v[2:5]
	s_waitcnt vmcnt(12)
	ds_store_b128 v58, v[6:9] offset:1904
	s_waitcnt vmcnt(11)
	ds_store_b128 v58, v[10:13] offset:3808
	;; [unrolled: 2-line block ×13, first 2 shown]
	v_cmpx_eq_u32_e32 0x76, v70
	s_cbranch_execz .LBB0_14
; %bb.13:
	v_add_co_u32 v0, s0, 0x6000, v0
	s_delay_alu instid0(VALU_DEP_1)
	v_add_co_ci_u32_e64 v1, s0, 0, v1, s0
	v_mov_b32_e32 v4, 0
	v_mov_b32_e32 v70, 0x76
	global_load_b128 v[0:3], v[0:1], off offset:2080
	s_waitcnt vmcnt(0)
	ds_store_b128 v4, v[0:3] offset:26656
.LBB0_14:
	s_or_b32 exec_lo, exec_lo, s4
.LBB0_15:
	s_delay_alu instid0(SALU_CYCLE_1)
	s_or_b32 exec_lo, exec_lo, s1
	v_lshlrev_b32_e32 v0, 4, v70
	s_waitcnt lgkmcnt(0)
	s_barrier
	buffer_gl0_inv
	s_add_u32 s1, s8, 0x6710
	v_add_nc_u32_e32 v106, 0, v0
	v_sub_nc_u32_e32 v10, 0, v0
	s_addc_u32 s4, s9, 0
	s_mov_b32 s5, exec_lo
                                        ; implicit-def: $vgpr4_vgpr5
	ds_load_b64 v[6:7], v106
	ds_load_b64 v[8:9], v10 offset:26656
	s_waitcnt lgkmcnt(0)
	v_add_f64 v[0:1], v[6:7], v[8:9]
	v_add_f64 v[2:3], v[6:7], -v[8:9]
	v_cmpx_ne_u32_e32 0, v70
	s_xor_b32 s5, exec_lo, s5
	s_cbranch_execz .LBB0_17
; %bb.16:
	v_mov_b32_e32 v71, 0
	v_add_f64 v[13:14], v[6:7], v[8:9]
	v_add_f64 v[15:16], v[6:7], -v[8:9]
	s_delay_alu instid0(VALU_DEP_3) | instskip(NEXT) | instid1(VALU_DEP_1)
	v_lshlrev_b64 v[0:1], 4, v[70:71]
	v_add_co_u32 v0, s0, s1, v0
	s_delay_alu instid0(VALU_DEP_1)
	v_add_co_ci_u32_e64 v1, s0, s4, v1, s0
	global_load_b128 v[2:5], v[0:1], off
	ds_load_b64 v[0:1], v10 offset:26664
	ds_load_b64 v[11:12], v106 offset:8
	s_waitcnt lgkmcnt(0)
	v_add_f64 v[6:7], v[0:1], v[11:12]
	v_add_f64 v[0:1], v[11:12], -v[0:1]
	s_waitcnt vmcnt(0)
	v_fma_f64 v[8:9], v[15:16], v[4:5], v[13:14]
	v_fma_f64 v[11:12], -v[15:16], v[4:5], v[13:14]
	s_delay_alu instid0(VALU_DEP_3) | instskip(SKIP_1) | instid1(VALU_DEP_4)
	v_fma_f64 v[13:14], v[6:7], v[4:5], -v[0:1]
	v_fma_f64 v[4:5], v[6:7], v[4:5], v[0:1]
	v_fma_f64 v[0:1], -v[6:7], v[2:3], v[8:9]
	s_delay_alu instid0(VALU_DEP_4) | instskip(NEXT) | instid1(VALU_DEP_4)
	v_fma_f64 v[6:7], v[6:7], v[2:3], v[11:12]
	v_fma_f64 v[8:9], v[15:16], v[2:3], v[13:14]
	s_delay_alu instid0(VALU_DEP_4)
	v_fma_f64 v[2:3], v[15:16], v[2:3], v[4:5]
	v_dual_mov_b32 v4, v70 :: v_dual_mov_b32 v5, v71
	ds_store_b128 v10, v[6:9] offset:26656
.LBB0_17:
	s_and_not1_saveexec_b32 s0, s5
	s_cbranch_execz .LBB0_19
; %bb.18:
	v_mov_b32_e32 v8, 0
	ds_load_b128 v[4:7], v8 offset:13328
	s_waitcnt lgkmcnt(0)
	v_add_f64 v[11:12], v[4:5], v[4:5]
	v_mul_f64 v[13:14], v[6:7], -2.0
	v_mov_b32_e32 v4, 0
	v_mov_b32_e32 v5, 0
	ds_store_b128 v8, v[11:14] offset:13328
.LBB0_19:
	s_or_b32 exec_lo, exec_lo, s0
	v_lshlrev_b64 v[4:5], 4, v[4:5]
	s_mov_b32 s33, exec_lo
	s_delay_alu instid0(VALU_DEP_1) | instskip(NEXT) | instid1(VALU_DEP_1)
	v_add_co_u32 v23, s0, s1, v4
	v_add_co_ci_u32_e64 v24, s0, s4, v5, s0
	s_clause 0x1
	global_load_b128 v[4:7], v[23:24], off offset:1904
	global_load_b128 v[11:14], v[23:24], off offset:3808
	ds_store_b128 v106, v[0:3]
	ds_load_b128 v[0:3], v106 offset:1904
	ds_load_b128 v[15:18], v10 offset:24752
	v_add_co_u32 v25, s0, 0x1000, v23
	s_delay_alu instid0(VALU_DEP_1)
	v_add_co_ci_u32_e64 v26, s0, 0, v24, s0
	global_load_b128 v[19:22], v[25:26], off offset:1616
	s_waitcnt lgkmcnt(0)
	v_add_f64 v[8:9], v[0:1], v[15:16]
	v_add_f64 v[27:28], v[17:18], v[2:3]
	v_add_f64 v[15:16], v[0:1], -v[15:16]
	v_add_f64 v[0:1], v[2:3], -v[17:18]
	s_waitcnt vmcnt(2)
	s_delay_alu instid0(VALU_DEP_2) | instskip(NEXT) | instid1(VALU_DEP_2)
	v_fma_f64 v[2:3], v[15:16], v[6:7], v[8:9]
	v_fma_f64 v[17:18], v[27:28], v[6:7], v[0:1]
	v_fma_f64 v[8:9], -v[15:16], v[6:7], v[8:9]
	v_fma_f64 v[29:30], v[27:28], v[6:7], -v[0:1]
	s_delay_alu instid0(VALU_DEP_4) | instskip(NEXT) | instid1(VALU_DEP_4)
	v_fma_f64 v[0:1], -v[27:28], v[4:5], v[2:3]
	v_fma_f64 v[2:3], v[15:16], v[4:5], v[17:18]
	s_delay_alu instid0(VALU_DEP_4) | instskip(NEXT) | instid1(VALU_DEP_4)
	v_fma_f64 v[6:7], v[27:28], v[4:5], v[8:9]
	v_fma_f64 v[8:9], v[15:16], v[4:5], v[29:30]
	ds_store_b128 v106, v[0:3] offset:1904
	ds_store_b128 v10, v[6:9] offset:24752
	ds_load_b128 v[0:3], v106 offset:3808
	ds_load_b128 v[4:7], v10 offset:22848
	global_load_b128 v[15:18], v[25:26], off offset:3520
	s_waitcnt lgkmcnt(0)
	v_add_f64 v[8:9], v[0:1], v[4:5]
	v_add_f64 v[25:26], v[6:7], v[2:3]
	v_add_f64 v[27:28], v[0:1], -v[4:5]
	v_add_f64 v[0:1], v[2:3], -v[6:7]
	s_waitcnt vmcnt(2)
	s_delay_alu instid0(VALU_DEP_2) | instskip(NEXT) | instid1(VALU_DEP_2)
	v_fma_f64 v[2:3], v[27:28], v[13:14], v[8:9]
	v_fma_f64 v[4:5], v[25:26], v[13:14], v[0:1]
	v_fma_f64 v[6:7], -v[27:28], v[13:14], v[8:9]
	v_fma_f64 v[8:9], v[25:26], v[13:14], -v[0:1]
	s_delay_alu instid0(VALU_DEP_4) | instskip(NEXT) | instid1(VALU_DEP_4)
	v_fma_f64 v[0:1], -v[25:26], v[11:12], v[2:3]
	v_fma_f64 v[2:3], v[27:28], v[11:12], v[4:5]
	s_delay_alu instid0(VALU_DEP_4) | instskip(NEXT) | instid1(VALU_DEP_4)
	v_fma_f64 v[4:5], v[25:26], v[11:12], v[6:7]
	v_fma_f64 v[6:7], v[27:28], v[11:12], v[8:9]
	v_add_co_u32 v8, s0, 0x2000, v23
	s_delay_alu instid0(VALU_DEP_1)
	v_add_co_ci_u32_e64 v9, s0, 0, v24, s0
	ds_store_b128 v106, v[0:3] offset:3808
	ds_store_b128 v10, v[4:7] offset:22848
	ds_load_b128 v[0:3], v106 offset:5712
	ds_load_b128 v[4:7], v10 offset:20944
	global_load_b128 v[11:14], v[8:9], off offset:1328
	s_waitcnt lgkmcnt(0)
	v_add_f64 v[23:24], v[0:1], v[4:5]
	v_add_f64 v[25:26], v[6:7], v[2:3]
	v_add_f64 v[27:28], v[0:1], -v[4:5]
	v_add_f64 v[0:1], v[2:3], -v[6:7]
	s_waitcnt vmcnt(2)
	s_delay_alu instid0(VALU_DEP_2) | instskip(NEXT) | instid1(VALU_DEP_2)
	v_fma_f64 v[2:3], v[27:28], v[21:22], v[23:24]
	v_fma_f64 v[4:5], v[25:26], v[21:22], v[0:1]
	v_fma_f64 v[6:7], -v[27:28], v[21:22], v[23:24]
	v_fma_f64 v[21:22], v[25:26], v[21:22], -v[0:1]
	s_delay_alu instid0(VALU_DEP_4) | instskip(NEXT) | instid1(VALU_DEP_4)
	v_fma_f64 v[0:1], -v[25:26], v[19:20], v[2:3]
	v_fma_f64 v[2:3], v[27:28], v[19:20], v[4:5]
	s_delay_alu instid0(VALU_DEP_4) | instskip(NEXT) | instid1(VALU_DEP_4)
	v_fma_f64 v[4:5], v[25:26], v[19:20], v[6:7]
	v_fma_f64 v[6:7], v[27:28], v[19:20], v[21:22]
	ds_store_b128 v106, v[0:3] offset:5712
	ds_store_b128 v10, v[4:7] offset:20944
	ds_load_b128 v[0:3], v106 offset:7616
	ds_load_b128 v[4:7], v10 offset:19040
	global_load_b128 v[19:22], v[8:9], off offset:3232
	s_waitcnt lgkmcnt(0)
	v_add_f64 v[8:9], v[0:1], v[4:5]
	v_add_f64 v[23:24], v[6:7], v[2:3]
	v_add_f64 v[25:26], v[0:1], -v[4:5]
	v_add_f64 v[0:1], v[2:3], -v[6:7]
	s_waitcnt vmcnt(2)
	s_delay_alu instid0(VALU_DEP_2) | instskip(NEXT) | instid1(VALU_DEP_2)
	v_fma_f64 v[2:3], v[25:26], v[17:18], v[8:9]
	v_fma_f64 v[4:5], v[23:24], v[17:18], v[0:1]
	v_fma_f64 v[6:7], -v[25:26], v[17:18], v[8:9]
	v_fma_f64 v[8:9], v[23:24], v[17:18], -v[0:1]
	s_delay_alu instid0(VALU_DEP_4) | instskip(NEXT) | instid1(VALU_DEP_4)
	v_fma_f64 v[0:1], -v[23:24], v[15:16], v[2:3]
	v_fma_f64 v[2:3], v[25:26], v[15:16], v[4:5]
	s_delay_alu instid0(VALU_DEP_4) | instskip(NEXT) | instid1(VALU_DEP_4)
	v_fma_f64 v[4:5], v[23:24], v[15:16], v[6:7]
	v_fma_f64 v[6:7], v[25:26], v[15:16], v[8:9]
	ds_store_b128 v106, v[0:3] offset:7616
	ds_store_b128 v10, v[4:7] offset:19040
	ds_load_b128 v[0:3], v106 offset:9520
	ds_load_b128 v[4:7], v10 offset:17136
	s_waitcnt lgkmcnt(0)
	v_add_f64 v[8:9], v[0:1], v[4:5]
	v_add_f64 v[15:16], v[6:7], v[2:3]
	v_add_f64 v[17:18], v[0:1], -v[4:5]
	v_add_f64 v[0:1], v[2:3], -v[6:7]
	s_waitcnt vmcnt(1)
	s_delay_alu instid0(VALU_DEP_2) | instskip(NEXT) | instid1(VALU_DEP_2)
	v_fma_f64 v[2:3], v[17:18], v[13:14], v[8:9]
	v_fma_f64 v[4:5], v[15:16], v[13:14], v[0:1]
	v_fma_f64 v[6:7], -v[17:18], v[13:14], v[8:9]
	v_fma_f64 v[8:9], v[15:16], v[13:14], -v[0:1]
	s_delay_alu instid0(VALU_DEP_4) | instskip(NEXT) | instid1(VALU_DEP_4)
	v_fma_f64 v[0:1], -v[15:16], v[11:12], v[2:3]
	v_fma_f64 v[2:3], v[17:18], v[11:12], v[4:5]
	s_delay_alu instid0(VALU_DEP_4) | instskip(NEXT) | instid1(VALU_DEP_4)
	v_fma_f64 v[4:5], v[15:16], v[11:12], v[6:7]
	v_fma_f64 v[6:7], v[17:18], v[11:12], v[8:9]
	ds_store_b128 v106, v[0:3] offset:9520
	ds_store_b128 v10, v[4:7] offset:17136
	ds_load_b128 v[0:3], v106 offset:11424
	ds_load_b128 v[4:7], v10 offset:15232
	s_waitcnt lgkmcnt(0)
	v_add_f64 v[8:9], v[0:1], v[4:5]
	v_add_f64 v[11:12], v[6:7], v[2:3]
	v_add_f64 v[13:14], v[0:1], -v[4:5]
	v_add_f64 v[0:1], v[2:3], -v[6:7]
	s_waitcnt vmcnt(0)
	s_delay_alu instid0(VALU_DEP_2) | instskip(NEXT) | instid1(VALU_DEP_2)
	v_fma_f64 v[2:3], v[13:14], v[21:22], v[8:9]
	v_fma_f64 v[4:5], v[11:12], v[21:22], v[0:1]
	v_fma_f64 v[6:7], -v[13:14], v[21:22], v[8:9]
	v_fma_f64 v[8:9], v[11:12], v[21:22], -v[0:1]
	s_delay_alu instid0(VALU_DEP_4) | instskip(NEXT) | instid1(VALU_DEP_4)
	v_fma_f64 v[0:1], -v[11:12], v[19:20], v[2:3]
	v_fma_f64 v[2:3], v[13:14], v[19:20], v[4:5]
	s_delay_alu instid0(VALU_DEP_4) | instskip(NEXT) | instid1(VALU_DEP_4)
	v_fma_f64 v[4:5], v[11:12], v[19:20], v[6:7]
	v_fma_f64 v[6:7], v[13:14], v[19:20], v[8:9]
	ds_store_b128 v106, v[0:3] offset:11424
	ds_store_b128 v10, v[4:7] offset:15232
	s_waitcnt lgkmcnt(0)
	s_barrier
	buffer_gl0_inv
	s_barrier
	buffer_gl0_inv
	ds_load_b128 v[8:11], v106
	ds_load_b128 v[36:39], v106 offset:1568
	ds_load_b128 v[40:43], v106 offset:3136
	;; [unrolled: 1-line block ×16, first 2 shown]
	s_waitcnt lgkmcnt(0)
	s_barrier
	buffer_gl0_inv
	v_cmpx_gt_u32_e32 0x62, v70
	s_cbranch_execz .LBB0_21
; %bb.20:
	v_add_f64 v[74:75], v[10:11], v[38:39]
	v_add_f64 v[76:77], v[8:9], v[36:37]
	v_add_f64 v[80:81], v[56:57], -v[32:33]
	v_add_f64 v[82:83], v[58:59], -v[34:35]
	;; [unrolled: 1-line block ×3, first 2 shown]
	s_mov_b32 s30, 0x7c9e640b
	s_mov_b32 s24, 0x6c9a05f6
	;; [unrolled: 1-line block ×12, first 2 shown]
	v_add_f64 v[86:87], v[64:65], -v[28:29]
	v_add_f64 v[78:79], v[66:67], v[30:31]
	v_add_f64 v[36:37], v[36:37], v[0:1]
	s_mov_b32 s44, 0xeb564b22
	s_mov_b32 s40, 0x923c349f
	;; [unrolled: 1-line block ×18, first 2 shown]
	v_add_f64 v[74:75], v[74:75], v[42:43]
	v_add_f64 v[76:77], v[76:77], v[40:41]
	s_mov_b32 s47, 0x3feec746
	s_mov_b32 s36, s44
	v_mul_f64 v[111:112], v[104:105], s[24:25]
	v_mul_f64 v[119:120], v[104:105], s[48:49]
	s_mov_b32 s38, s22
	s_mov_b32 s46, s40
	v_add_f64 v[90:91], v[60:61], -v[24:25]
	v_add_f64 v[84:85], v[62:63], v[26:27]
	v_add_f64 v[100:101], v[44:45], -v[12:13]
	v_add_f64 v[98:99], v[46:47], v[14:15]
	v_mul_f64 v[113:114], v[104:105], s[40:41]
	v_mul_f64 v[115:116], v[104:105], s[36:37]
	;; [unrolled: 1-line block ×3, first 2 shown]
	s_mov_b32 s28, 0x3259b75e
	s_mov_b32 s34, 0xc61f0d01
	;; [unrolled: 1-line block ×12, first 2 shown]
	v_add_f64 v[94:95], v[52:53], -v[20:21]
	v_add_f64 v[88:89], v[54:55], v[22:23]
	v_add_f64 v[96:97], v[48:49], -v[16:17]
	v_add_f64 v[92:93], v[50:51], v[18:19]
	s_mov_b32 s53, 0x3fe9895b
	s_mov_b32 s52, s24
	v_lshl_add_u32 v71, v70, 8, v106
	v_add_f64 v[74:75], v[74:75], v[46:47]
	v_add_f64 v[76:77], v[76:77], v[44:45]
	v_add_f64 v[46:47], v[46:47], -v[14:15]
	v_add_f64 v[44:45], v[44:45], v[12:13]
	v_mul_f64 v[139:140], v[100:101], s[26:27]
	v_mul_f64 v[147:148], v[100:101], s[36:37]
	;; [unrolled: 1-line block ×7, first 2 shown]
	v_add_f64 v[74:75], v[74:75], v[50:51]
	v_add_f64 v[76:77], v[76:77], v[48:49]
	v_add_f64 v[50:51], v[50:51], -v[18:19]
	v_mul_f64 v[149:150], v[46:47], s[36:37]
	v_mul_f64 v[153:154], v[46:47], s[38:39]
	v_add_f64 v[48:49], v[48:49], v[16:17]
	v_mul_f64 v[141:142], v[46:47], s[26:27]
	v_mul_f64 v[161:162], v[46:47], s[20:21]
	;; [unrolled: 1-line block ×6, first 2 shown]
	v_fma_f64 v[217:218], v[98:99], s[4:5], v[139:140]
	v_fma_f64 v[139:140], v[98:99], s[4:5], -v[139:140]
	v_fma_f64 v[223:224], v[98:99], s[28:29], v[147:148]
	v_fma_f64 v[147:148], v[98:99], s[28:29], -v[147:148]
	v_fma_f64 v[231:232], v[98:99], s[12:13], -v[159:160]
	;; [unrolled: 1-line block ×5, first 2 shown]
	v_fma_f64 v[159:160], v[98:99], s[12:13], v[159:160]
	v_fma_f64 v[167:168], v[98:99], s[34:35], v[167:168]
	;; [unrolled: 1-line block ×4, first 2 shown]
	v_add_f64 v[74:75], v[74:75], v[54:55]
	v_add_f64 v[76:77], v[76:77], v[52:53]
	;; [unrolled: 1-line block ×3, first 2 shown]
	v_add_f64 v[54:55], v[54:55], -v[22:23]
	v_fma_f64 v[253:254], v[44:45], s[28:29], -v[149:150]
	v_fma_f64 v[149:150], v[44:45], s[28:29], v[149:150]
	v_add_f64 v[74:75], v[74:75], v[62:63]
	v_add_f64 v[76:77], v[76:77], v[60:61]
	;; [unrolled: 1-line block ×3, first 2 shown]
	v_add_f64 v[62:63], v[62:63], -v[26:27]
	s_delay_alu instid0(VALU_DEP_4) | instskip(NEXT) | instid1(VALU_DEP_4)
	v_add_f64 v[102:103], v[74:75], v[66:67]
	v_add_f64 v[107:108], v[76:77], v[64:65]
	;; [unrolled: 1-line block ×5, first 2 shown]
	v_add_f64 v[66:67], v[66:67], -v[30:31]
	v_add_f64 v[109:110], v[102:103], v[58:59]
	v_add_f64 v[107:108], v[107:108], v[56:57]
	v_add_f64 v[58:59], v[38:39], v[2:3]
	v_add_f64 v[38:39], v[38:39], -v[2:3]
	v_add_f64 v[102:103], v[40:41], -v[4:5]
	v_add_f64 v[56:57], v[42:43], v[6:7]
	v_add_f64 v[42:43], v[42:43], -v[6:7]
	v_add_f64 v[40:41], v[40:41], v[4:5]
	v_add_f64 v[34:35], v[109:110], v[34:35]
	;; [unrolled: 1-line block ×3, first 2 shown]
	v_mul_f64 v[109:110], v[104:105], s[26:27]
	v_mul_f64 v[123:124], v[38:39], s[26:27]
	;; [unrolled: 1-line block ×16, first 2 shown]
	v_fma_f64 v[193:194], v[58:59], s[14:15], v[111:112]
	v_mul_f64 v[135:136], v[102:103], s[22:23]
	v_mul_f64 v[137:138], v[42:43], s[22:23]
	;; [unrolled: 1-line block ×9, first 2 shown]
	v_fma_f64 v[111:112], v[58:59], s[14:15], -v[111:112]
	v_fma_f64 v[195:196], v[58:59], s[34:35], v[113:114]
	v_fma_f64 v[113:114], v[58:59], s[34:35], -v[113:114]
	v_fma_f64 v[197:198], v[58:59], s[28:29], v[115:116]
	;; [unrolled: 2-line block ×3, first 2 shown]
	v_fma_f64 v[117:118], v[58:59], s[18:19], -v[117:118]
	v_add_f64 v[30:31], v[34:35], v[30:31]
	v_add_f64 v[28:29], v[32:33], v[28:29]
	v_mul_f64 v[32:33], v[42:43], s[46:47]
	v_fma_f64 v[191:192], v[58:59], s[4:5], v[109:110]
	v_fma_f64 v[109:110], v[58:59], s[4:5], -v[109:110]
	v_fma_f64 v[201:202], v[36:37], s[4:5], -v[123:124]
	v_fma_f64 v[123:124], v[36:37], s[4:5], v[123:124]
	v_fma_f64 v[203:204], v[36:37], s[14:15], -v[125:126]
	v_fma_f64 v[209:210], v[36:37], s[18:19], -v[131:132]
	v_fma_f64 v[131:132], v[36:37], s[18:19], v[131:132]
	v_mul_f64 v[34:35], v[100:101], s[38:39]
	v_mul_f64 v[100:101], v[100:101], s[42:43]
	;; [unrolled: 1-line block ×3, first 2 shown]
	v_fma_f64 v[189:190], v[58:59], s[0:1], v[107:108]
	v_fma_f64 v[107:108], v[58:59], s[0:1], -v[107:108]
	v_fma_f64 v[125:126], v[36:37], s[14:15], v[125:126]
	v_fma_f64 v[205:206], v[36:37], s[34:35], -v[127:128]
	v_fma_f64 v[127:128], v[36:37], s[34:35], v[127:128]
	v_fma_f64 v[207:208], v[36:37], s[28:29], -v[129:130]
	v_fma_f64 v[129:130], v[36:37], s[28:29], v[129:130]
	v_fma_f64 v[211:212], v[36:37], s[12:13], -v[133:134]
	v_fma_f64 v[133:134], v[36:37], s[12:13], v[133:134]
	v_fma_f64 v[213:214], v[36:37], s[10:11], -v[38:39]
	v_fma_f64 v[219:220], v[56:57], s[18:19], v[143:144]
	v_fma_f64 v[221:222], v[40:41], s[18:19], -v[145:146]
	v_fma_f64 v[143:144], v[56:57], s[18:19], -v[143:144]
	v_fma_f64 v[145:146], v[40:41], s[18:19], v[145:146]
	v_fma_f64 v[225:226], v[56:57], s[34:35], v[151:152]
	;; [unrolled: 1-line block ×3, first 2 shown]
	v_fma_f64 v[245:246], v[56:57], s[28:29], -v[175:176]
	v_add_f64 v[193:194], v[10:11], v[193:194]
	v_fma_f64 v[215:216], v[40:41], s[10:11], -v[137:138]
	v_fma_f64 v[151:152], v[56:57], s[34:35], -v[151:152]
	;; [unrolled: 1-line block ×5, first 2 shown]
	v_fma_f64 v[163:164], v[56:57], s[0:1], v[163:164]
	v_fma_f64 v[169:170], v[56:57], s[14:15], v[169:170]
	v_add_f64 v[26:27], v[30:31], v[26:27]
	v_add_f64 v[24:25], v[28:29], v[24:25]
	v_fma_f64 v[30:31], v[58:59], s[12:13], -v[119:120]
	v_fma_f64 v[28:29], v[58:59], s[12:13], v[119:120]
	v_fma_f64 v[119:120], v[58:59], s[10:11], v[104:105]
	v_fma_f64 v[58:59], v[58:59], s[10:11], -v[104:105]
	v_fma_f64 v[104:105], v[36:37], s[0:1], -v[121:122]
	v_fma_f64 v[121:122], v[36:37], s[0:1], v[121:122]
	v_fma_f64 v[36:37], v[36:37], s[10:11], v[38:39]
	v_fma_f64 v[227:228], v[40:41], s[34:35], -v[32:33]
	v_add_f64 v[191:192], v[10:11], v[191:192]
	v_add_f64 v[201:202], v[8:9], v[201:202]
	;; [unrolled: 1-line block ×6, first 2 shown]
	v_fma_f64 v[38:39], v[56:57], s[10:11], v[135:136]
	v_fma_f64 v[135:136], v[56:57], s[10:11], -v[135:136]
	v_fma_f64 v[229:230], v[98:99], s[10:11], v[34:35]
	v_fma_f64 v[175:176], v[56:57], s[28:29], v[175:176]
	v_add_f64 v[189:190], v[10:11], v[189:190]
	v_add_f64 v[107:108], v[10:11], v[107:108]
	;; [unrolled: 1-line block ×21, first 2 shown]
	v_fma_f64 v[24:25], v[40:41], s[34:35], v[32:33]
	v_fma_f64 v[26:27], v[98:99], s[10:11], -v[34:35]
	v_fma_f64 v[32:33], v[56:57], s[4:5], -v[155:156]
	v_fma_f64 v[34:35], v[40:41], s[4:5], v[157:158]
	v_fma_f64 v[155:156], v[56:57], s[4:5], v[155:156]
	;; [unrolled: 1-line block ×3, first 2 shown]
	v_fma_f64 v[102:103], v[98:99], s[18:19], -v[100:101]
	v_fma_f64 v[98:99], v[98:99], s[18:19], v[100:101]
	v_fma_f64 v[100:101], v[40:41], s[12:13], v[42:43]
	v_add_f64 v[104:105], v[8:9], v[104:105]
	v_add_f64 v[121:122], v[8:9], v[121:122]
	;; [unrolled: 1-line block ×11, first 2 shown]
	v_mul_f64 v[225:226], v[96:97], s[52:53]
	v_add_f64 v[203:204], v[227:228], v[203:204]
	v_mul_f64 v[227:228], v[50:51], s[52:53]
	v_add_f64 v[131:132], v[241:242], v[131:132]
	v_mul_f64 v[241:242], v[96:97], s[26:27]
	v_fma_f64 v[137:138], v[40:41], s[10:11], v[137:138]
	v_fma_f64 v[235:236], v[40:41], s[0:1], v[165:166]
	;; [unrolled: 1-line block ×3, first 2 shown]
	v_fma_f64 v[157:158], v[40:41], s[4:5], -v[157:158]
	v_fma_f64 v[165:166], v[40:41], s[0:1], -v[165:166]
	;; [unrolled: 1-line block ×6, first 2 shown]
	v_fma_f64 v[141:142], v[44:45], s[4:5], v[141:142]
	v_add_f64 v[18:19], v[22:23], v[18:19]
	v_add_f64 v[16:17], v[20:21], v[16:17]
	v_fma_f64 v[20:21], v[44:45], s[10:11], -v[153:154]
	v_add_f64 v[30:31], v[245:246], v[30:31]
	v_mul_f64 v[245:246], v[50:51], s[26:27]
	v_fma_f64 v[22:23], v[44:45], s[10:11], v[153:154]
	v_fma_f64 v[153:154], v[44:45], s[12:13], v[161:162]
	v_fma_f64 v[161:162], v[44:45], s[12:13], -v[161:162]
	v_fma_f64 v[36:37], v[44:45], s[34:35], v[181:182]
	v_fma_f64 v[58:59], v[44:45], s[34:35], -v[181:182]
	;; [unrolled: 2-line block ×3, first 2 shown]
	v_add_f64 v[38:39], v[38:39], v[189:190]
	v_add_f64 v[104:105], v[215:216], v[104:105]
	;; [unrolled: 1-line block ×4, first 2 shown]
	v_mul_f64 v[151:152], v[94:95], s[38:39]
	v_add_f64 v[24:25], v[24:25], v[125:126]
	v_mul_f64 v[125:126], v[54:55], s[38:39]
	v_add_f64 v[34:35], v[34:35], v[127:128]
	v_add_f64 v[117:118], v[239:240], v[117:118]
	;; [unrolled: 1-line block ×3, first 2 shown]
	v_mul_f64 v[251:252], v[94:95], s[44:45]
	v_add_f64 v[8:9], v[100:101], v[8:9]
	v_mul_f64 v[100:101], v[54:55], s[44:45]
	v_add_f64 v[163:164], v[163:164], v[197:198]
	;; [unrolled: 2-line block ×3, first 2 shown]
	v_fma_f64 v[223:224], v[92:93], s[14:15], v[225:226]
	v_add_f64 v[201:202], v[253:254], v[201:202]
	v_fma_f64 v[253:254], v[48:49], s[14:15], -v[227:228]
	v_add_f64 v[109:110], v[147:148], v[109:110]
	v_fma_f64 v[225:226], v[92:93], s[14:15], -v[225:226]
	v_add_f64 v[123:124], v[149:150], v[123:124]
	v_fma_f64 v[227:228], v[48:49], s[14:15], v[227:228]
	v_add_f64 v[193:194], v[229:230], v[193:194]
	v_fma_f64 v[229:230], v[92:93], s[4:5], v[241:242]
	v_add_f64 v[121:122], v[137:138], v[121:122]
	v_add_f64 v[14:15], v[18:19], v[14:15]
	;; [unrolled: 1-line block ×3, first 2 shown]
	v_fma_f64 v[16:17], v[44:45], s[14:15], v[185:186]
	v_fma_f64 v[18:19], v[44:45], s[14:15], -v[185:186]
	v_fma_f64 v[185:186], v[44:45], s[18:19], v[46:47]
	v_fma_f64 v[44:45], v[44:45], s[18:19], -v[46:47]
	v_mul_f64 v[46:47], v[50:51], s[20:21]
	v_add_f64 v[20:21], v[20:21], v[203:204]
	v_fma_f64 v[203:204], v[48:49], s[4:5], -v[245:246]
	v_mul_f64 v[189:190], v[94:95], s[24:25]
	v_mul_f64 v[215:216], v[54:55], s[24:25]
	;; [unrolled: 1-line block ×3, first 2 shown]
	v_add_f64 v[129:130], v[235:236], v[129:130]
	v_add_f64 v[155:156], v[155:156], v[195:196]
	v_mul_f64 v[195:196], v[90:91], s[48:49]
	v_add_f64 v[165:166], v[165:166], v[207:208]
	v_mul_f64 v[207:208], v[62:63], s[48:49]
	v_add_f64 v[38:39], v[217:218], v[38:39]
	v_fma_f64 v[217:218], v[92:93], s[12:13], v[187:188]
	v_add_f64 v[42:43], v[42:43], v[104:105]
	v_add_f64 v[107:108], v[139:140], v[107:108]
	v_fma_f64 v[187:188], v[92:93], s[12:13], -v[187:188]
	v_add_f64 v[177:178], v[177:178], v[211:212]
	v_mul_f64 v[211:212], v[54:55], s[16:17]
	v_add_f64 v[26:27], v[26:27], v[111:112]
	v_fma_f64 v[241:242], v[92:93], s[4:5], -v[241:242]
	v_add_f64 v[22:23], v[22:23], v[24:25]
	v_fma_f64 v[245:246], v[48:49], s[4:5], v[245:246]
	v_add_f64 v[34:35], v[153:154], v[34:35]
	v_fma_f64 v[153:154], v[48:49], s[18:19], v[197:198]
	;; [unrolled: 2-line block ×3, first 2 shown]
	v_add_f64 v[191:192], v[223:224], v[191:192]
	v_fma_f64 v[223:224], v[52:53], s[10:11], -v[125:126]
	v_add_f64 v[201:202], v[253:254], v[201:202]
	v_add_f64 v[109:110], v[225:226], v[109:110]
	v_fma_f64 v[151:152], v[88:89], s[10:11], -v[151:152]
	v_add_f64 v[123:124], v[227:228], v[123:124]
	v_fma_f64 v[125:126], v[52:53], s[10:11], v[125:126]
	v_add_f64 v[193:194], v[229:230], v[193:194]
	v_fma_f64 v[229:230], v[88:89], s[28:29], v[251:252]
	v_add_f64 v[121:122], v[141:142], v[121:122]
	v_add_f64 v[32:33], v[32:33], v[113:114]
	;; [unrolled: 1-line block ×3, first 2 shown]
	v_fma_f64 v[104:105], v[48:49], s[12:13], -v[46:47]
	v_fma_f64 v[46:47], v[48:49], s[12:13], v[46:47]
	v_add_f64 v[20:21], v[203:204], v[20:21]
	v_fma_f64 v[203:204], v[52:53], s[28:29], -v[100:101]
	v_add_f64 v[157:158], v[157:158], v[205:206]
	v_mul_f64 v[205:206], v[96:97], s[42:43]
	v_add_f64 v[40:41], v[40:41], v[213:214]
	v_mul_f64 v[213:214], v[62:63], s[44:45]
	v_mul_f64 v[111:112], v[96:97], s[22:23]
	;; [unrolled: 1-line block ×3, first 2 shown]
	v_add_f64 v[36:37], v[36:37], v[129:130]
	v_mul_f64 v[129:130], v[96:97], s[46:47]
	v_add_f64 v[38:39], v[217:218], v[38:39]
	v_fma_f64 v[217:218], v[88:89], s[14:15], v[189:190]
	v_fma_f64 v[189:190], v[88:89], s[14:15], -v[189:190]
	v_add_f64 v[107:108], v[187:188], v[107:108]
	v_mul_f64 v[253:254], v[50:51], s[46:47]
	v_fma_f64 v[251:252], v[88:89], s[28:29], -v[251:252]
	v_add_f64 v[131:132], v[181:182], v[131:132]
	v_add_f64 v[26:27], v[241:242], v[26:27]
	v_mul_f64 v[241:242], v[96:97], s[16:17]
	v_add_f64 v[22:23], v[245:246], v[22:23]
	v_mul_f64 v[245:246], v[50:51], s[16:17]
	v_add_f64 v[34:35], v[153:154], v[34:35]
	v_fma_f64 v[153:154], v[52:53], s[0:1], v[211:212]
	v_mul_f64 v[96:97], v[96:97], s[36:37]
	v_mul_f64 v[50:51], v[50:51], s[36:37]
	v_fma_f64 v[181:182], v[60:61], s[12:13], -v[207:208]
	v_add_f64 v[201:202], v[223:224], v[201:202]
	v_fma_f64 v[223:224], v[60:61], s[0:1], -v[127:128]
	v_fma_f64 v[127:128], v[60:61], s[0:1], v[127:128]
	v_add_f64 v[109:110], v[151:152], v[109:110]
	v_fma_f64 v[151:152], v[84:85], s[12:13], v[195:196]
	v_add_f64 v[123:124], v[125:126], v[123:124]
	v_add_f64 v[193:194], v[229:230], v[193:194]
	v_mul_f64 v[135:136], v[90:91], s[30:31]
	v_mul_f64 v[137:138], v[62:63], s[30:31]
	;; [unrolled: 1-line block ×3, first 2 shown]
	v_add_f64 v[42:43], v[104:105], v[42:43]
	v_fma_f64 v[104:105], v[52:53], s[14:15], -v[215:216]
	v_add_f64 v[133:134], v[247:248], v[133:134]
	v_add_f64 v[20:21], v[203:204], v[20:21]
	;; [unrolled: 1-line block ×3, first 2 shown]
	v_fma_f64 v[215:216], v[52:53], s[14:15], v[215:216]
	v_add_f64 v[169:170], v[169:170], v[199:200]
	v_add_f64 v[171:172], v[171:172], v[209:210]
	;; [unrolled: 1-line block ×4, first 2 shown]
	v_mul_f64 v[141:142], v[94:95], s[16:17]
	v_add_f64 v[32:33], v[231:232], v[32:33]
	v_fma_f64 v[231:232], v[92:93], s[18:19], -v[205:206]
	v_mul_f64 v[187:188], v[94:95], s[42:43]
	v_mul_f64 v[121:122], v[54:55], s[42:43]
	v_add_f64 v[115:116], v[237:238], v[115:116]
	v_mul_f64 v[225:226], v[94:95], s[20:21]
	v_mul_f64 v[227:228], v[54:55], s[20:21]
	v_add_f64 v[107:108], v[189:190], v[107:108]
	v_mul_f64 v[189:190], v[54:55], s[50:51]
	v_mul_f64 v[54:55], v[54:55], s[40:41]
	v_fma_f64 v[203:204], v[92:93], s[10:11], -v[111:112]
	v_add_f64 v[26:27], v[251:252], v[26:27]
	v_fma_f64 v[251:252], v[48:49], s[10:11], v[24:25]
	v_add_f64 v[34:35], v[153:154], v[34:35]
	v_fma_f64 v[153:154], v[60:61], s[28:29], v[213:214]
	v_add_f64 v[30:31], v[249:250], v[30:31]
	v_add_f64 v[10:11], v[102:103], v[10:11]
	;; [unrolled: 1-line block ×3, first 2 shown]
	v_fma_f64 v[185:186], v[92:93], s[28:29], -v[96:97]
	v_add_f64 v[155:156], v[159:160], v[155:156]
	v_fma_f64 v[159:160], v[48:49], s[28:29], v[50:51]
	v_mul_f64 v[219:220], v[86:87], s[40:41]
	v_add_f64 v[123:124], v[127:128], v[123:124]
	v_fma_f64 v[127:128], v[92:93], s[34:35], -v[129:130]
	v_add_f64 v[151:152], v[151:152], v[193:194]
	v_fma_f64 v[193:194], v[48:49], s[34:35], v[253:254]
	v_mul_f64 v[233:234], v[86:87], s[20:21]
	v_add_f64 v[38:39], v[217:218], v[38:39]
	v_add_f64 v[42:43], v[104:105], v[42:43]
	v_mul_f64 v[104:105], v[94:95], s[50:51]
	v_mul_f64 v[94:95], v[94:95], s[40:41]
	v_add_f64 v[20:21], v[181:182], v[20:21]
	v_fma_f64 v[181:182], v[92:93], s[0:1], -v[241:242]
	v_fma_f64 v[217:218], v[84:85], s[18:19], v[135:136]
	v_add_f64 v[46:47], v[215:216], v[46:47]
	v_fma_f64 v[215:216], v[60:61], s[18:19], -v[137:138]
	v_add_f64 v[191:192], v[243:244], v[191:192]
	v_fma_f64 v[243:244], v[84:85], s[0:1], v[113:114]
	v_fma_f64 v[249:250], v[48:49], s[0:1], v[245:246]
	v_add_f64 v[16:17], v[16:17], v[133:134]
	v_fma_f64 v[205:206], v[92:93], s[18:19], v[205:206]
	v_fma_f64 v[197:198], v[48:49], s[18:19], -v[197:198]
	v_fma_f64 v[111:112], v[92:93], s[10:11], v[111:112]
	v_fma_f64 v[24:25], v[48:49], s[10:11], -v[24:25]
	;; [unrolled: 2-line block ×3, first 2 shown]
	v_add_f64 v[157:158], v[161:162], v[157:158]
	v_add_f64 v[161:162], v[167:168], v[163:164]
	;; [unrolled: 1-line block ×8, first 2 shown]
	v_fma_f64 v[14:15], v[92:93], s[0:1], v[241:242]
	v_add_f64 v[18:19], v[18:19], v[177:178]
	v_fma_f64 v[28:29], v[48:49], s[0:1], -v[245:246]
	v_fma_f64 v[100:101], v[52:53], s[28:29], v[100:101]
	v_fma_f64 v[92:93], v[92:93], s[28:29], v[96:97]
	v_add_f64 v[56:57], v[98:99], v[56:57]
	v_fma_f64 v[48:49], v[48:49], s[28:29], -v[50:51]
	v_add_f64 v[40:41], v[44:45], v[40:41]
	v_mul_f64 v[119:120], v[90:91], s[44:45]
	v_mul_f64 v[237:238], v[90:91], s[26:27]
	v_add_f64 v[32:33], v[231:232], v[32:33]
	v_fma_f64 v[231:232], v[88:89], s[0:1], -v[141:142]
	v_fma_f64 v[133:134], v[88:89], s[18:19], -v[187:188]
	v_fma_f64 v[102:103], v[52:53], s[18:19], v[121:122]
	v_add_f64 v[115:116], v[203:204], v[115:116]
	v_add_f64 v[36:37], v[251:252], v[36:37]
	;; [unrolled: 1-line block ×3, first 2 shown]
	v_mul_f64 v[153:154], v[62:63], s[26:27]
	v_add_f64 v[117:118], v[127:128], v[117:118]
	v_add_f64 v[127:128], v[193:194], v[131:132]
	v_fma_f64 v[131:132], v[88:89], s[12:13], -v[225:226]
	v_fma_f64 v[167:168], v[52:53], s[12:13], v[227:228]
	v_mul_f64 v[169:170], v[90:91], s[38:39]
	v_mul_f64 v[171:172], v[62:63], s[38:39]
	v_add_f64 v[30:31], v[181:182], v[30:31]
	v_mul_f64 v[179:180], v[90:91], s[46:47]
	v_mul_f64 v[181:182], v[62:63], s[46:47]
	v_add_f64 v[10:11], v[185:186], v[10:11]
	v_fma_f64 v[183:184], v[88:89], s[34:35], -v[94:95]
	v_mul_f64 v[90:91], v[90:91], s[24:25]
	v_add_f64 v[8:9], v[159:160], v[8:9]
	v_fma_f64 v[159:160], v[52:53], s[34:35], v[54:55]
	v_mul_f64 v[62:63], v[62:63], s[24:25]
	v_fma_f64 v[125:126], v[78:79], s[34:35], v[219:220]
	v_add_f64 v[38:39], v[217:218], v[38:39]
	v_add_f64 v[42:43], v[215:216], v[42:43]
	v_fma_f64 v[215:216], v[78:79], s[12:13], v[233:234]
	v_add_f64 v[191:192], v[243:244], v[191:192]
	v_add_f64 v[16:17], v[249:250], v[16:17]
	v_fma_f64 v[173:174], v[88:89], s[4:5], -v[104:105]
	v_fma_f64 v[177:178], v[52:53], s[4:5], v[189:190]
	v_add_f64 v[155:156], v[205:206], v[155:156]
	v_fma_f64 v[141:142], v[88:89], s[0:1], v[141:142]
	v_add_f64 v[157:158], v[197:198], v[157:158]
	v_fma_f64 v[185:186], v[52:53], s[0:1], -v[211:212]
	v_add_f64 v[111:112], v[111:112], v[161:162]
	v_fma_f64 v[96:97], v[88:89], s[18:19], v[187:188]
	v_add_f64 v[24:25], v[24:25], v[58:59]
	v_fma_f64 v[44:45], v[52:53], s[18:19], -v[121:122]
	;; [unrolled: 4-line block ×4, first 2 shown]
	v_mul_f64 v[209:210], v[66:67], s[16:17]
	v_mul_f64 v[149:150], v[66:67], s[38:39]
	v_add_f64 v[22:23], v[100:101], v[22:23]
	v_fma_f64 v[207:208], v[60:61], s[12:13], v[207:208]
	v_fma_f64 v[88:89], v[88:89], s[34:35], v[94:95]
	v_add_f64 v[56:57], v[92:93], v[56:57]
	v_fma_f64 v[52:53], v[52:53], s[34:35], -v[54:55]
	v_add_f64 v[40:41], v[48:49], v[40:41]
	v_mul_f64 v[221:222], v[66:67], s[40:41]
	v_mul_f64 v[199:200], v[86:87], s[16:17]
	;; [unrolled: 1-line block ×3, first 2 shown]
	v_fma_f64 v[137:138], v[60:61], s[18:19], v[137:138]
	v_add_f64 v[32:33], v[231:232], v[32:33]
	v_fma_f64 v[231:232], v[84:85], s[28:29], -v[119:120]
	v_add_f64 v[115:116], v[133:134], v[115:116]
	v_add_f64 v[36:37], v[102:103], v[36:37]
	v_fma_f64 v[102:103], v[84:85], s[4:5], -v[237:238]
	v_fma_f64 v[133:134], v[60:61], s[4:5], v[153:154]
	v_mul_f64 v[161:162], v[86:87], s[52:53]
	v_mul_f64 v[163:164], v[66:67], s[52:53]
	v_add_f64 v[117:118], v[131:132], v[117:118]
	v_add_f64 v[127:128], v[167:168], v[127:128]
	v_fma_f64 v[131:132], v[84:85], s[10:11], -v[169:170]
	v_fma_f64 v[165:166], v[60:61], s[10:11], v[171:172]
	v_mul_f64 v[167:168], v[86:87], s[36:37]
	v_mul_f64 v[187:188], v[66:67], s[36:37]
	;; [unrolled: 1-line block ×3, first 2 shown]
	v_add_f64 v[10:11], v[183:184], v[10:11]
	v_fma_f64 v[183:184], v[84:85], s[14:15], -v[90:91]
	v_mul_f64 v[86:87], v[86:87], s[26:27]
	v_add_f64 v[8:9], v[159:160], v[8:9]
	v_fma_f64 v[48:49], v[60:61], s[14:15], v[62:63]
	v_mul_f64 v[54:55], v[66:67], s[26:27]
	v_add_f64 v[38:39], v[125:126], v[38:39]
	v_add_f64 v[125:126], v[215:216], v[191:192]
	;; [unrolled: 1-line block ×4, first 2 shown]
	v_fma_f64 v[173:174], v[84:85], s[34:35], -v[179:180]
	v_fma_f64 v[177:178], v[60:61], s[34:35], v[181:182]
	v_mul_f64 v[191:192], v[66:67], s[30:31]
	v_fma_f64 v[195:196], v[84:85], s[12:13], -v[195:196]
	v_mul_f64 v[235:236], v[66:67], s[20:21]
	v_fma_f64 v[135:136], v[84:85], s[18:19], -v[135:136]
	v_fma_f64 v[113:114], v[84:85], s[0:1], -v[113:114]
	v_add_f64 v[66:67], v[141:142], v[155:156]
	v_add_f64 v[92:93], v[185:186], v[157:158]
	;; [unrolled: 1-line block ×8, first 2 shown]
	v_fma_f64 v[18:19], v[84:85], s[28:29], v[119:120]
	v_fma_f64 v[28:29], v[60:61], s[28:29], -v[213:214]
	v_fma_f64 v[58:59], v[84:85], s[4:5], v[237:238]
	v_fma_f64 v[96:97], v[60:61], s[4:5], -v[153:154]
	;; [unrolled: 2-line block ×4, first 2 shown]
	v_add_f64 v[201:202], v[223:224], v[201:202]
	v_fma_f64 v[223:224], v[64:65], s[0:1], -v[209:210]
	v_fma_f64 v[209:210], v[64:65], s[0:1], v[209:210]
	v_add_f64 v[22:23], v[207:208], v[22:23]
	v_fma_f64 v[129:130], v[64:65], s[10:11], v[149:150]
	v_fma_f64 v[84:85], v[84:85], s[14:15], v[90:91]
	v_add_f64 v[56:57], v[88:89], v[56:57]
	v_fma_f64 v[60:61], v[60:61], s[14:15], -v[62:63]
	v_add_f64 v[40:41], v[52:53], v[40:41]
	v_mul_f64 v[143:144], v[80:81], s[44:45]
	v_mul_f64 v[145:146], v[82:83], s[44:45]
	;; [unrolled: 1-line block ×6, first 2 shown]
	v_fma_f64 v[229:230], v[64:65], s[34:35], -v[221:222]
	v_fma_f64 v[221:222], v[64:65], s[34:35], v[221:222]
	v_add_f64 v[46:47], v[137:138], v[46:47]
	v_add_f64 v[32:33], v[231:232], v[32:33]
	v_fma_f64 v[104:105], v[78:79], s[10:11], -v[147:148]
	v_mul_f64 v[141:142], v[80:81], s[24:25]
	v_mul_f64 v[153:154], v[82:83], s[24:25]
	v_add_f64 v[102:103], v[102:103], v[115:116]
	v_add_f64 v[36:37], v[133:134], v[36:37]
	v_fma_f64 v[115:116], v[78:79], s[14:15], -v[161:162]
	v_fma_f64 v[133:134], v[64:65], s[14:15], v[163:164]
	v_mul_f64 v[155:156], v[80:81], s[20:21]
	v_mul_f64 v[157:158], v[82:83], s[20:21]
	v_add_f64 v[117:118], v[131:132], v[117:118]
	v_add_f64 v[127:128], v[165:166], v[127:128]
	v_fma_f64 v[131:132], v[78:79], s[28:29], -v[167:168]
	v_fma_f64 v[159:160], v[64:65], s[28:29], v[187:188]
	v_mul_f64 v[165:166], v[80:81], s[26:27]
	v_mul_f64 v[169:170], v[82:83], s[26:27]
	;; [unrolled: 1-line block ×4, first 2 shown]
	v_add_f64 v[10:11], v[183:184], v[10:11]
	v_fma_f64 v[171:172], v[78:79], s[4:5], -v[86:87]
	v_add_f64 v[8:9], v[48:49], v[8:9]
	v_fma_f64 v[48:49], v[64:65], s[4:5], v[54:55]
	v_mul_f64 v[80:81], v[80:81], s[16:17]
	v_mul_f64 v[82:83], v[82:83], s[16:17]
	v_add_f64 v[30:31], v[173:174], v[30:31]
	v_add_f64 v[16:17], v[177:178], v[16:17]
	v_fma_f64 v[52:53], v[78:79], s[18:19], -v[189:190]
	v_fma_f64 v[62:63], v[64:65], s[18:19], v[191:192]
	v_fma_f64 v[243:244], v[78:79], s[0:1], v[199:200]
	v_fma_f64 v[199:200], v[78:79], s[0:1], -v[199:200]
	v_add_f64 v[26:27], v[195:196], v[26:27]
	v_add_f64 v[107:108], v[135:136], v[107:108]
	v_fma_f64 v[135:136], v[64:65], s[12:13], -v[235:236]
	v_fma_f64 v[233:234], v[78:79], s[12:13], -v[233:234]
	v_fma_f64 v[235:236], v[64:65], s[12:13], v[235:236]
	v_add_f64 v[109:110], v[113:114], v[109:110]
	v_fma_f64 v[219:220], v[78:79], s[34:35], -v[219:220]
	v_add_f64 v[18:19], v[18:19], v[66:67]
	v_add_f64 v[28:29], v[28:29], v[92:93]
	;; [unrolled: 1-line block ×6, first 2 shown]
	v_fma_f64 v[66:67], v[78:79], s[10:11], v[147:148]
	v_fma_f64 v[92:93], v[64:65], s[10:11], -v[149:150]
	v_fma_f64 v[94:95], v[78:79], s[14:15], v[161:162]
	v_fma_f64 v[96:97], v[64:65], s[14:15], -v[163:164]
	;; [unrolled: 2-line block ×3, first 2 shown]
	v_add_f64 v[12:13], v[119:120], v[12:13]
	v_add_f64 v[14:15], v[121:122], v[14:15]
	v_fma_f64 v[119:120], v[78:79], s[18:19], v[189:190]
	v_fma_f64 v[121:122], v[64:65], s[18:19], -v[191:192]
	v_add_f64 v[161:162], v[209:210], v[22:23]
	v_fma_f64 v[22:23], v[78:79], s[4:5], v[86:87]
	v_add_f64 v[56:57], v[84:85], v[56:57]
	v_add_f64 v[78:79], v[129:130], v[34:35]
	v_fma_f64 v[34:35], v[64:65], s[4:5], -v[54:55]
	v_add_f64 v[40:41], v[60:61], v[40:41]
	v_fma_f64 v[217:218], v[76:77], s[28:29], -v[145:146]
	v_fma_f64 v[145:146], v[76:77], s[28:29], v[145:146]
	v_add_f64 v[46:47], v[221:222], v[46:47]
	v_add_f64 v[32:33], v[104:105], v[32:33]
	v_add_f64 v[64:65], v[115:116], v[102:103]
	v_add_f64 v[84:85], v[133:134], v[36:37]
	v_add_f64 v[102:103], v[131:132], v[117:118]
	v_add_f64 v[104:105], v[159:160], v[127:128]
	v_add_f64 v[131:132], v[171:172], v[10:11]
	v_add_f64 v[48:49], v[48:49], v[8:9]
	v_fma_f64 v[133:134], v[74:75], s[0:1], -v[80:81]
	v_fma_f64 v[159:160], v[76:77], s[0:1], v[82:83]
	v_add_f64 v[42:43], v[229:230], v[42:43]
	v_add_f64 v[52:53], v[52:53], v[30:31]
	;; [unrolled: 1-line block ×3, first 2 shown]
	v_fma_f64 v[127:128], v[74:75], s[10:11], -v[88:89]
	v_fma_f64 v[129:130], v[76:77], s[10:11], v[90:91]
	v_fma_f64 v[100:101], v[74:75], s[28:29], v[143:144]
	v_fma_f64 v[36:37], v[74:75], s[12:13], -v[155:156]
	v_fma_f64 v[115:116], v[74:75], s[4:5], -v[165:166]
	v_fma_f64 v[117:118], v[76:77], s[4:5], v[169:170]
	v_fma_f64 v[54:55], v[74:75], s[14:15], -v[141:142]
	v_fma_f64 v[86:87], v[76:77], s[12:13], v[157:158]
	v_fma_f64 v[60:61], v[76:77], s[14:15], v[153:154]
	v_fma_f64 v[149:150], v[76:77], s[18:19], -v[139:140]
	v_add_f64 v[26:27], v[199:200], v[26:27]
	v_fma_f64 v[163:164], v[74:75], s[18:19], -v[175:176]
	v_fma_f64 v[139:140], v[76:77], s[18:19], v[139:140]
	v_fma_f64 v[137:138], v[74:75], s[34:35], v[239:240]
	v_fma_f64 v[113:114], v[76:77], s[34:35], -v[247:248]
	v_fma_f64 v[239:240], v[74:75], s[34:35], -v[239:240]
	v_fma_f64 v[247:248], v[76:77], s[34:35], v[247:248]
	v_add_f64 v[109:110], v[233:234], v[109:110]
	v_add_f64 v[123:124], v[235:236], v[123:124]
	v_fma_f64 v[143:144], v[74:75], s[28:29], -v[143:144]
	v_add_f64 v[107:108], v[219:220], v[107:108]
	v_add_f64 v[135:136], v[135:136], v[201:202]
	;; [unrolled: 1-line block ×4, first 2 shown]
	v_fma_f64 v[147:148], v[74:75], s[18:19], v[175:176]
	v_add_f64 v[66:67], v[66:67], v[18:19]
	v_add_f64 v[92:93], v[92:93], v[28:29]
	;; [unrolled: 1-line block ×6, first 2 shown]
	v_fma_f64 v[50:51], v[74:75], s[14:15], v[141:142]
	v_fma_f64 v[153:154], v[76:77], s[14:15], -v[153:154]
	v_add_f64 v[111:112], v[119:120], v[12:13]
	v_add_f64 v[119:120], v[121:122], v[14:15]
	v_fma_f64 v[121:122], v[74:75], s[12:13], v[155:156]
	v_fma_f64 v[155:156], v[76:77], s[12:13], -v[157:158]
	v_fma_f64 v[141:142], v[74:75], s[4:5], v[165:166]
	v_fma_f64 v[88:89], v[74:75], s[10:11], v[88:89]
	;; [unrolled: 1-line block ×3, first 2 shown]
	v_fma_f64 v[80:81], v[76:77], s[4:5], -v[169:170]
	v_fma_f64 v[90:91], v[76:77], s[10:11], -v[90:91]
	v_add_f64 v[157:158], v[22:23], v[56:57]
	v_fma_f64 v[76:77], v[76:77], s[0:1], -v[82:83]
	v_add_f64 v[82:83], v[34:35], v[40:41]
	v_add_f64 v[2:3], v[6:7], v[2:3]
	;; [unrolled: 1-line block ×35, first 2 shown]
	ds_store_b128 v71, v[0:3]
	ds_store_b128 v71, v[44:47] offset:16
	ds_store_b128 v71, v[40:43] offset:32
	;; [unrolled: 1-line block ×16, first 2 shown]
.LBB0_21:
	s_or_b32 exec_lo, exec_lo, s33
	v_add_nc_u16 v3, v70, 0x77
	v_add_nc_u32_e32 v0, 0xee, v70
	v_add_nc_u32_e32 v12, 0x165, v70
	v_and_b32_e32 v1, 0xff, v70
	v_add_nc_u32_e32 v13, 0x1dc, v70
	v_and_b32_e32 v2, 0xff, v3
	v_and_b32_e32 v4, 0xffff, v0
	v_add_nc_u32_e32 v14, 0x253, v70
	v_mul_lo_u16 v71, 0xf1, v1
	v_and_b32_e32 v5, 0xffff, v12
	v_add_nc_u32_e32 v15, 0x2ca, v70
	v_mul_lo_u16 v1, 0xf1, v2
	v_and_b32_e32 v6, 0xffff, v13
	v_mul_u32_u24_e32 v4, 0xf0f1, v4
	v_lshrrev_b16 v84, 12, v71
	v_and_b32_e32 v7, 0xffff, v14
	v_mul_u32_u24_e32 v5, 0xf0f1, v5
	v_lshrrev_b16 v2, 12, v1
	v_and_b32_e32 v10, 0xffff, v15
	v_mul_u32_u24_e32 v6, 0xf0f1, v6
	v_lshrrev_b32_e32 v85, 20, v4
	v_mul_lo_u16 v8, v84, 17
	v_mul_u32_u24_e32 v7, 0xf0f1, v7
	v_lshrrev_b32_e32 v86, 20, v5
	v_mul_lo_u16 v9, v2, 17
	;; [unrolled: 3-line block ×3, first 2 shown]
	v_sub_nc_u16 v8, v70, v8
	v_lshrrev_b32_e32 v90, 20, v7
	v_mul_lo_u16 v18, v86, 17
	v_sub_nc_u16 v9, v3, v9
	v_lshrrev_b32_e32 v91, 20, v16
	v_mul_lo_u16 v16, v87, 17
	v_sub_nc_u16 v0, v0, v17
	v_and_b32_e32 v8, 0xff, v8
	v_mul_lo_u16 v17, v90, 17
	v_sub_nc_u16 v12, v12, v18
	v_and_b32_e32 v9, 0xff, v9
	;; [unrolled: 3-line block ×3, first 2 shown]
	v_lshlrev_b32_e32 v88, 4, v8
	v_sub_nc_u16 v14, v14, v17
	v_and_b32_e32 v12, 0xffff, v12
	v_lshlrev_b32_e32 v89, 4, v9
	v_sub_nc_u16 v15, v15, v18
	v_and_b32_e32 v13, 0xffff, v13
	v_lshlrev_b32_e32 v92, 4, v0
	s_waitcnt lgkmcnt(0)
	s_barrier
	buffer_gl0_inv
	s_clause 0x1
	global_load_b128 v[4:7], v88, s[8:9]
	global_load_b128 v[8:11], v89, s[8:9]
	v_and_b32_e32 v0, 0xffff, v14
	v_lshlrev_b32_e32 v93, 4, v12
	v_and_b32_e32 v20, 0xffff, v15
	v_lshlrev_b32_e32 v94, 4, v13
	global_load_b128 v[12:15], v92, s[8:9]
	v_lshlrev_b32_e32 v95, 4, v0
	global_load_b128 v[16:19], v93, s[8:9]
	v_lshlrev_b32_e32 v96, 4, v20
	s_clause 0x2
	global_load_b128 v[20:23], v94, s[8:9]
	global_load_b128 v[24:27], v95, s[8:9]
	;; [unrolled: 1-line block ×3, first 2 shown]
	ds_load_b128 v[32:35], v106 offset:13328
	ds_load_b128 v[36:39], v106 offset:15232
	;; [unrolled: 1-line block ×8, first 2 shown]
	v_lshrrev_b16 v0, 13, v71
	v_lshrrev_b16 v1, 13, v1
	s_mov_b32 s14, 0x37e14327
	s_mov_b32 s4, 0x36b3c0b5
	s_mov_b32 s16, 0xe976ee23
	s_mov_b32 s15, 0x3fe948f6
	s_mov_b32 s5, 0x3fac98ee
	s_mov_b32 s17, 0x3fe11646
	s_mov_b32 s10, 0x429ad128
	s_mov_b32 s11, 0xbfebfeb5
	s_mov_b32 s12, 0xaaaaaaaa
	s_mov_b32 s18, 0x5476071b
	s_mov_b32 s24, 0xb247c609
	s_mov_b32 s13, 0xbff2aaaa
	s_mov_b32 s19, 0x3fe77f67
	s_mov_b32 s25, 0xbfd5d0dc
	s_mov_b32 s21, 0xbfe77f67
	s_mov_b32 s23, 0x3fd5d0dc
	s_mov_b32 s20, s18
	s_mov_b32 s22, s24
	s_mov_b32 s26, 0x37c3f68c
	s_mov_b32 s27, 0xbfdc38aa
	s_waitcnt vmcnt(6) lgkmcnt(7)
	v_mul_f64 v[64:65], v[34:35], v[6:7]
	v_mul_f64 v[6:7], v[32:33], v[6:7]
	s_waitcnt vmcnt(5) lgkmcnt(6)
	v_mul_f64 v[66:67], v[38:39], v[10:11]
	v_mul_f64 v[10:11], v[36:37], v[10:11]
	;; [unrolled: 3-line block ×7, first 2 shown]
	v_fma_f64 v[32:33], v[32:33], v[4:5], v[64:65]
	v_fma_f64 v[34:35], v[34:35], v[4:5], -v[6:7]
	v_fma_f64 v[36:37], v[36:37], v[8:9], v[66:67]
	v_fma_f64 v[38:39], v[38:39], v[8:9], -v[10:11]
	v_and_b32_e32 v64, 0xffff, v84
	v_mul_u32_u24_e32 v67, 0x220, v91
	v_fma_f64 v[40:41], v[40:41], v[12:13], v[74:75]
	v_fma_f64 v[42:43], v[42:43], v[12:13], -v[14:15]
	v_fma_f64 v[44:45], v[44:45], v[16:17], v[76:77]
	v_fma_f64 v[46:47], v[46:47], v[16:17], -v[18:19]
	;; [unrolled: 2-line block ×5, first 2 shown]
	ds_load_b128 v[4:7], v106
	ds_load_b128 v[8:11], v106 offset:1904
	ds_load_b128 v[12:15], v106 offset:3808
	;; [unrolled: 1-line block ×5, first 2 shown]
	s_waitcnt lgkmcnt(0)
	s_barrier
	buffer_gl0_inv
	v_add3_u32 v67, 0, v67, v96
	v_add_f64 v[28:29], v[4:5], -v[32:33]
	v_add_f64 v[30:31], v[6:7], -v[34:35]
	;; [unrolled: 1-line block ×14, first 2 shown]
	v_mul_lo_u16 v56, v0, 34
	v_and_b32_e32 v0, 0xffff, v0
	s_delay_alu instid0(VALU_DEP_2) | instskip(NEXT) | instid1(VALU_DEP_2)
	v_sub_nc_u16 v65, v70, v56
	v_mul_u32_u24_e32 v0, 0xee0, v0
	v_fma_f64 v[4:5], v[4:5], 2.0, -v[28:29]
	v_fma_f64 v[6:7], v[6:7], 2.0, -v[30:31]
	;; [unrolled: 1-line block ×14, first 2 shown]
	v_mul_lo_u16 v60, v1, 34
	v_and_b32_e32 v62, 0xffff, v2
	v_and_b32_e32 v2, 0xff, v65
	v_mul_u32_u24_e32 v61, 0x220, v64
	v_mul_u32_u24_e32 v63, 0x220, v85
	v_sub_nc_u16 v3, v3, v60
	v_mul_u32_u24_e32 v62, 0x220, v62
	v_mul_u32_u24_e32 v66, 6, v2
	;; [unrolled: 1-line block ×4, first 2 shown]
	v_and_b32_e32 v3, 0xff, v3
	v_mul_u32_u24_e32 v65, 0x220, v90
	v_add3_u32 v61, 0, v61, v88
	v_lshlrev_b32_e32 v66, 4, v66
	v_add3_u32 v62, 0, v62, v89
	v_mul_u32_u24_e32 v71, 6, v3
	v_add3_u32 v63, 0, v63, v92
	v_add3_u32 v60, 0, v60, v93
	;; [unrolled: 1-line block ×4, first 2 shown]
	ds_store_b128 v61, v[4:7]
	ds_store_b128 v61, v[28:31] offset:272
	ds_store_b128 v62, v[8:11]
	ds_store_b128 v62, v[32:35] offset:272
	;; [unrolled: 2-line block ×7, first 2 shown]
	s_waitcnt lgkmcnt(0)
	s_barrier
	buffer_gl0_inv
	s_clause 0x2
	global_load_b128 v[4:7], v66, s[8:9] offset:272
	global_load_b128 v[8:11], v66, s[8:9] offset:288
	;; [unrolled: 1-line block ×3, first 2 shown]
	v_lshlrev_b32_e32 v48, 4, v71
	s_clause 0x8
	global_load_b128 v[16:19], v66, s[8:9] offset:336
	global_load_b128 v[20:23], v48, s[8:9] offset:272
	;; [unrolled: 1-line block ×9, first 2 shown]
	ds_load_b128 v[52:55], v106 offset:3808
	ds_load_b128 v[56:59], v106 offset:7616
	;; [unrolled: 1-line block ×12, first 2 shown]
	v_and_b32_e32 v1, 0xffff, v1
	v_lshlrev_b32_e32 v2, 4, v2
	v_lshlrev_b32_e32 v3, 4, v3
	s_delay_alu instid0(VALU_DEP_3) | instskip(NEXT) | instid1(VALU_DEP_3)
	v_mul_u32_u24_e32 v1, 0xee0, v1
	v_add3_u32 v0, 0, v0, v2
	s_delay_alu instid0(VALU_DEP_2)
	v_add3_u32 v1, 0, v1, v3
	s_waitcnt vmcnt(8) lgkmcnt(8)
	v_mul_f64 v[113:114], v[66:67], v[18:19]
	v_mul_f64 v[107:108], v[54:55], v[6:7]
	v_mul_f64 v[6:7], v[52:53], v[6:7]
	v_mul_f64 v[109:110], v[58:59], v[10:11]
	v_mul_f64 v[10:11], v[56:57], v[10:11]
	v_mul_f64 v[111:112], v[62:63], v[14:15]
	v_mul_f64 v[14:15], v[60:61], v[14:15]
	v_mul_f64 v[18:19], v[64:65], v[18:19]
	s_waitcnt vmcnt(7) lgkmcnt(7)
	v_mul_f64 v[115:116], v[76:77], v[22:23]
	v_mul_f64 v[22:23], v[74:75], v[22:23]
	s_waitcnt vmcnt(6) lgkmcnt(6)
	v_mul_f64 v[117:118], v[80:81], v[26:27]
	v_mul_f64 v[26:27], v[78:79], v[26:27]
	;; [unrolled: 3-line block ×5, first 2 shown]
	s_waitcnt vmcnt(2)
	v_mul_f64 v[125:126], v[92:93], v[42:43]
	v_mul_f64 v[42:43], v[90:91], v[42:43]
	v_fma_f64 v[52:53], v[52:53], v[4:5], v[107:108]
	v_fma_f64 v[4:5], v[54:55], v[4:5], -v[6:7]
	v_fma_f64 v[6:7], v[56:57], v[8:9], v[109:110]
	v_fma_f64 v[8:9], v[58:59], v[8:9], -v[10:11]
	;; [unrolled: 2-line block ×4, first 2 shown]
	s_waitcnt vmcnt(1) lgkmcnt(1)
	v_mul_f64 v[18:19], v[100:101], v[46:47]
	v_mul_f64 v[46:47], v[98:99], v[46:47]
	s_waitcnt vmcnt(0) lgkmcnt(0)
	v_mul_f64 v[54:55], v[104:105], v[50:51]
	v_mul_f64 v[50:51], v[102:103], v[50:51]
	v_fma_f64 v[56:57], v[74:75], v[20:21], v[115:116]
	v_fma_f64 v[20:21], v[76:77], v[20:21], -v[22:23]
	v_fma_f64 v[22:23], v[78:79], v[24:25], v[117:118]
	v_fma_f64 v[24:25], v[80:81], v[24:25], -v[26:27]
	;; [unrolled: 2-line block ×6, first 2 shown]
	v_add_f64 v[42:43], v[52:53], v[10:11]
	v_add_f64 v[58:59], v[4:5], v[12:13]
	;; [unrolled: 1-line block ×4, first 2 shown]
	v_fma_f64 v[18:19], v[98:99], v[44:45], v[18:19]
	v_fma_f64 v[44:45], v[100:101], v[44:45], -v[46:47]
	v_fma_f64 v[46:47], v[102:103], v[48:49], v[54:55]
	v_fma_f64 v[48:49], v[104:105], v[48:49], -v[50:51]
	v_add_f64 v[14:15], v[6:7], -v[14:15]
	v_add_f64 v[16:17], v[8:9], -v[16:17]
	;; [unrolled: 1-line block ×3, first 2 shown]
	v_add_f64 v[50:51], v[56:57], v[26:27]
	v_add_f64 v[54:55], v[20:21], v[28:29]
	;; [unrolled: 1-line block ×4, first 2 shown]
	v_add_f64 v[22:23], v[22:23], -v[30:31]
	v_add_f64 v[24:25], v[24:25], -v[32:33]
	v_add_f64 v[74:75], v[34:35], v[38:39]
	v_add_f64 v[76:77], v[36:37], v[40:41]
	v_add_f64 v[34:35], v[38:39], -v[34:35]
	v_add_f64 v[36:37], v[40:41], -v[36:37]
	;; [unrolled: 1-line block ×5, first 2 shown]
	v_add_f64 v[4:5], v[60:61], v[42:43]
	v_add_f64 v[6:7], v[62:63], v[58:59]
	;; [unrolled: 1-line block ×4, first 2 shown]
	v_add_f64 v[18:19], v[46:47], -v[18:19]
	v_add_f64 v[30:31], v[48:49], -v[44:45]
	;; [unrolled: 1-line block ×3, first 2 shown]
	v_add_f64 v[28:29], v[64:65], v[50:51]
	v_add_f64 v[32:33], v[66:67], v[54:55]
	v_add_f64 v[40:41], v[42:43], -v[74:75]
	v_add_f64 v[44:45], v[58:59], -v[76:77]
	;; [unrolled: 1-line block ×11, first 2 shown]
	v_add_f64 v[14:15], v[34:35], v[14:15]
	v_add_f64 v[16:17], v[36:37], v[16:17]
	v_add_f64 v[34:35], v[38:39], -v[34:35]
	v_add_f64 v[36:37], v[12:13], -v[36:37]
	v_add_f64 v[74:75], v[74:75], v[4:5]
	v_add_f64 v[76:77], v[76:77], v[6:7]
	v_add_f64 v[82:83], v[50:51], -v[8:9]
	v_add_f64 v[84:85], v[54:55], -v[10:11]
	;; [unrolled: 1-line block ×6, first 2 shown]
	v_add_f64 v[22:23], v[18:19], v[22:23]
	v_add_f64 v[24:25], v[30:31], v[24:25]
	;; [unrolled: 1-line block ×4, first 2 shown]
	ds_load_b128 v[4:7], v106
	ds_load_b128 v[8:11], v106 offset:1904
	v_mul_f64 v[100:101], v[80:81], s[10:11]
	v_mul_f64 v[40:41], v[40:41], s[14:15]
	;; [unrolled: 1-line block ×8, first 2 shown]
	v_add_f64 v[18:19], v[26:27], -v[18:19]
	v_add_f64 v[30:31], v[20:21], -v[30:31]
	v_mul_f64 v[102:103], v[90:91], s[10:11]
	v_mul_f64 v[104:105], v[92:93], s[10:11]
	v_add_f64 v[50:51], v[64:65], -v[50:51]
	v_add_f64 v[54:55], v[66:67], -v[54:55]
	v_add_f64 v[14:15], v[14:15], v[38:39]
	v_add_f64 v[12:13], v[16:17], v[12:13]
	s_waitcnt lgkmcnt(0)
	s_barrier
	buffer_gl0_inv
	v_add_f64 v[4:5], v[4:5], v[74:75]
	v_add_f64 v[6:7], v[6:7], v[76:77]
	v_mul_f64 v[82:83], v[82:83], s[14:15]
	v_mul_f64 v[84:85], v[84:85], s[14:15]
	;; [unrolled: 1-line block ×6, first 2 shown]
	v_add_f64 v[16:17], v[22:23], v[26:27]
	v_add_f64 v[20:21], v[24:25], v[20:21]
	;; [unrolled: 1-line block ×4, first 2 shown]
	v_fma_f64 v[22:23], v[46:47], s[4:5], v[40:41]
	v_fma_f64 v[24:25], v[48:49], s[4:5], v[44:45]
	v_fma_f64 v[26:27], v[42:43], s[18:19], -v[60:61]
	v_fma_f64 v[38:39], v[58:59], s[18:19], -v[62:63]
	v_fma_f64 v[46:47], v[34:35], s[24:25], v[52:53]
	v_fma_f64 v[48:49], v[36:37], s[24:25], v[56:57]
	v_fma_f64 v[34:35], v[34:35], s[22:23], -v[98:99]
	v_fma_f64 v[36:37], v[36:37], s[22:23], -v[100:101]
	v_fma_f64 v[40:41], v[42:43], s[20:21], -v[40:41]
	v_fma_f64 v[42:43], v[58:59], s[20:21], -v[44:45]
	v_fma_f64 v[52:53], v[78:79], s[10:11], -v[52:53]
	v_fma_f64 v[56:57], v[80:81], s[10:11], -v[56:57]
	v_fma_f64 v[60:61], v[74:75], s[12:13], v[4:5]
	v_fma_f64 v[62:63], v[76:77], s[12:13], v[6:7]
	v_fma_f64 v[44:45], v[94:95], s[4:5], v[82:83]
	v_fma_f64 v[58:59], v[96:97], s[4:5], v[84:85]
	v_fma_f64 v[74:75], v[18:19], s[24:25], v[86:87]
	v_fma_f64 v[76:77], v[30:31], s[24:25], v[88:89]
	v_fma_f64 v[78:79], v[90:91], s[10:11], -v[86:87]
	v_fma_f64 v[80:81], v[92:93], s[10:11], -v[88:89]
	;; [unrolled: 1-line block ×4, first 2 shown]
	v_fma_f64 v[28:29], v[28:29], s[12:13], v[8:9]
	v_fma_f64 v[32:33], v[32:33], s[12:13], v[10:11]
	v_fma_f64 v[82:83], v[50:51], s[20:21], -v[82:83]
	v_fma_f64 v[84:85], v[54:55], s[20:21], -v[84:85]
	;; [unrolled: 1-line block ×4, first 2 shown]
	v_fma_f64 v[46:47], v[14:15], s[26:27], v[46:47]
	v_fma_f64 v[48:49], v[12:13], s[26:27], v[48:49]
	;; [unrolled: 1-line block ×6, first 2 shown]
	v_add_f64 v[64:65], v[22:23], v[60:61]
	v_add_f64 v[66:67], v[24:25], v[62:63]
	;; [unrolled: 1-line block ×6, first 2 shown]
	v_fma_f64 v[60:61], v[16:17], s[26:27], v[74:75]
	v_fma_f64 v[62:63], v[20:21], s[26:27], v[76:77]
	;; [unrolled: 1-line block ×6, first 2 shown]
	v_add_f64 v[86:87], v[44:45], v[28:29]
	v_add_f64 v[58:59], v[58:59], v[32:33]
	v_add_f64 v[82:83], v[82:83], v[28:29]
	v_add_f64 v[84:85], v[84:85], v[32:33]
	v_add_f64 v[50:51], v[50:51], v[28:29]
	v_add_f64 v[54:55], v[54:55], v[32:33]
	v_add_f64 v[12:13], v[48:49], v[64:65]
	v_add_f64 v[14:15], v[66:67], -v[46:47]
	v_add_f64 v[16:17], v[36:37], v[40:41]
	v_add_f64 v[18:19], v[42:43], -v[34:35]
	v_add_f64 v[20:21], v[24:25], -v[56:57]
	v_add_f64 v[22:23], v[52:53], v[26:27]
	v_add_f64 v[24:25], v[56:57], v[24:25]
	v_add_f64 v[26:27], v[26:27], -v[52:53]
	v_add_f64 v[28:29], v[40:41], -v[36:37]
	v_add_f64 v[30:31], v[34:35], v[42:43]
	v_add_f64 v[32:33], v[64:65], -v[48:49]
	v_add_f64 v[34:35], v[46:47], v[66:67]
	v_add_f64 v[36:37], v[62:63], v[86:87]
	v_add_f64 v[38:39], v[58:59], -v[60:61]
	v_add_f64 v[40:41], v[80:81], v[82:83]
	v_add_f64 v[42:43], v[84:85], -v[78:79]
	v_add_f64 v[44:45], v[50:51], -v[76:77]
	v_add_f64 v[46:47], v[74:75], v[54:55]
	v_add_f64 v[48:49], v[76:77], v[50:51]
	v_add_f64 v[50:51], v[54:55], -v[74:75]
	v_add_f64 v[52:53], v[82:83], -v[80:81]
	v_add_f64 v[54:55], v[78:79], v[84:85]
	v_add_f64 v[56:57], v[86:87], -v[62:63]
	v_add_f64 v[58:59], v[60:61], v[58:59]
	v_mul_u32_u24_e32 v60, 6, v70
	ds_store_b128 v0, v[4:7]
	ds_store_b128 v0, v[12:15] offset:544
	ds_store_b128 v0, v[16:19] offset:1088
	;; [unrolled: 1-line block ×6, first 2 shown]
	ds_store_b128 v1, v[8:11]
	ds_store_b128 v1, v[36:39] offset:544
	ds_store_b128 v1, v[40:43] offset:1088
	;; [unrolled: 1-line block ×6, first 2 shown]
	v_lshlrev_b32_e32 v60, 4, v60
	s_waitcnt lgkmcnt(0)
	s_barrier
	buffer_gl0_inv
	s_clause 0x2
	global_load_b128 v[0:3], v60, s[8:9] offset:3552
	global_load_b128 v[4:7], v60, s[8:9] offset:3536
	;; [unrolled: 1-line block ×3, first 2 shown]
	v_add_co_u32 v61, s0, s8, v60
	s_delay_alu instid0(VALU_DEP_1) | instskip(NEXT) | instid1(VALU_DEP_2)
	v_add_co_ci_u32_e64 v62, null, s9, 0, s0
	v_add_co_u32 v44, s0, 0x2ca0, v61
	s_delay_alu instid0(VALU_DEP_1)
	v_add_co_ci_u32_e64 v45, s0, 0, v62, s0
	s_clause 0x8
	global_load_b128 v[12:15], v60, s[8:9] offset:3600
	global_load_b128 v[16:19], v[44:45], off offset:3536
	global_load_b128 v[20:23], v[44:45], off offset:3552
	;; [unrolled: 1-line block ×4, first 2 shown]
	global_load_b128 v[32:35], v60, s[8:9] offset:3568
	global_load_b128 v[36:39], v60, s[8:9] offset:3584
	global_load_b128 v[40:43], v[44:45], off offset:3568
	global_load_b128 v[44:47], v[44:45], off offset:3584
	ds_load_b128 v[48:51], v106 offset:3808
	ds_load_b128 v[52:55], v106 offset:7616
	;; [unrolled: 1-line block ×12, first 2 shown]
	s_waitcnt vmcnt(11) lgkmcnt(10)
	v_mul_f64 v[104:105], v[54:55], v[2:3]
	s_waitcnt vmcnt(10)
	v_mul_f64 v[102:103], v[50:51], v[6:7]
	v_mul_f64 v[6:7], v[48:49], v[6:7]
	;; [unrolled: 1-line block ×3, first 2 shown]
	s_waitcnt vmcnt(9) lgkmcnt(9)
	v_mul_f64 v[107:108], v[58:59], v[10:11]
	v_mul_f64 v[10:11], v[56:57], v[10:11]
	s_waitcnt vmcnt(8) lgkmcnt(8)
	v_mul_f64 v[109:110], v[62:63], v[14:15]
	v_mul_f64 v[14:15], v[60:61], v[14:15]
	;; [unrolled: 3-line block ×7, first 2 shown]
	s_waitcnt vmcnt(2)
	v_mul_f64 v[121:122], v[88:89], v[38:39]
	v_mul_f64 v[38:39], v[86:87], v[38:39]
	v_fma_f64 v[48:49], v[48:49], v[4:5], v[102:103]
	v_fma_f64 v[4:5], v[50:51], v[4:5], -v[6:7]
	v_fma_f64 v[6:7], v[52:53], v[0:1], v[104:105]
	v_fma_f64 v[0:1], v[54:55], v[0:1], -v[2:3]
	;; [unrolled: 2-line block ×4, first 2 shown]
	s_waitcnt vmcnt(1) lgkmcnt(1)
	v_mul_f64 v[14:15], v[96:97], v[42:43]
	v_mul_f64 v[42:43], v[94:95], v[42:43]
	s_waitcnt vmcnt(0) lgkmcnt(0)
	v_mul_f64 v[50:51], v[100:101], v[46:47]
	v_mul_f64 v[46:47], v[98:99], v[46:47]
	v_fma_f64 v[52:53], v[64:65], v[16:17], v[111:112]
	v_fma_f64 v[16:17], v[66:67], v[16:17], -v[18:19]
	v_fma_f64 v[18:19], v[74:75], v[20:21], v[113:114]
	v_fma_f64 v[20:21], v[76:77], v[20:21], -v[22:23]
	;; [unrolled: 2-line block ×6, first 2 shown]
	v_add_f64 v[38:39], v[48:49], v[2:3]
	v_add_f64 v[54:55], v[4:5], v[8:9]
	;; [unrolled: 1-line block ×4, first 2 shown]
	v_fma_f64 v[14:15], v[94:95], v[40:41], v[14:15]
	v_fma_f64 v[40:41], v[96:97], v[40:41], -v[42:43]
	v_fma_f64 v[42:43], v[98:99], v[44:45], v[50:51]
	v_fma_f64 v[44:45], v[100:101], v[44:45], -v[46:47]
	v_add_f64 v[10:11], v[6:7], -v[10:11]
	v_add_f64 v[12:13], v[0:1], -v[12:13]
	;; [unrolled: 1-line block ×3, first 2 shown]
	v_add_f64 v[46:47], v[52:53], v[22:23]
	v_add_f64 v[50:51], v[16:17], v[24:25]
	;; [unrolled: 1-line block ×4, first 2 shown]
	v_add_f64 v[18:19], v[18:19], -v[26:27]
	v_add_f64 v[20:21], v[20:21], -v[28:29]
	v_add_f64 v[64:65], v[30:31], v[34:35]
	v_add_f64 v[66:67], v[32:33], v[36:37]
	v_add_f64 v[30:31], v[34:35], -v[30:31]
	v_add_f64 v[32:33], v[36:37], -v[32:33]
	;; [unrolled: 1-line block ×5, first 2 shown]
	v_add_f64 v[0:1], v[56:57], v[38:39]
	v_add_f64 v[2:3], v[58:59], v[54:55]
	;; [unrolled: 1-line block ×4, first 2 shown]
	v_add_f64 v[14:15], v[42:43], -v[14:15]
	v_add_f64 v[26:27], v[44:45], -v[40:41]
	;; [unrolled: 1-line block ×3, first 2 shown]
	v_add_f64 v[24:25], v[60:61], v[46:47]
	v_add_f64 v[28:29], v[62:63], v[50:51]
	v_add_f64 v[36:37], v[38:39], -v[64:65]
	v_add_f64 v[40:41], v[54:55], -v[66:67]
	;; [unrolled: 1-line block ×11, first 2 shown]
	v_add_f64 v[10:11], v[30:31], v[10:11]
	v_add_f64 v[12:13], v[32:33], v[12:13]
	v_add_f64 v[30:31], v[34:35], -v[30:31]
	v_add_f64 v[32:33], v[8:9], -v[32:33]
	v_add_f64 v[64:65], v[64:65], v[0:1]
	v_add_f64 v[66:67], v[66:67], v[2:3]
	v_add_f64 v[78:79], v[46:47], -v[4:5]
	v_add_f64 v[80:81], v[50:51], -v[6:7]
	;; [unrolled: 1-line block ×6, first 2 shown]
	v_add_f64 v[18:19], v[14:15], v[18:19]
	v_add_f64 v[20:21], v[26:27], v[20:21]
	;; [unrolled: 1-line block ×4, first 2 shown]
	ds_load_b128 v[0:3], v106
	ds_load_b128 v[4:7], v106 offset:1904
	v_mul_f64 v[96:97], v[76:77], s[10:11]
	v_mul_f64 v[36:37], v[36:37], s[14:15]
	;; [unrolled: 1-line block ×7, first 2 shown]
	v_add_f64 v[14:15], v[22:23], -v[14:15]
	v_add_f64 v[26:27], v[16:17], -v[26:27]
	v_mul_f64 v[94:95], v[74:75], s[10:11]
	v_mul_f64 v[98:99], v[86:87], s[10:11]
	;; [unrolled: 1-line block ×3, first 2 shown]
	v_add_f64 v[46:47], v[60:61], -v[46:47]
	v_add_f64 v[50:51], v[62:63], -v[50:51]
	v_add_f64 v[10:11], v[10:11], v[34:35]
	v_add_f64 v[8:9], v[12:13], v[8:9]
	s_waitcnt lgkmcnt(0)
	s_barrier
	buffer_gl0_inv
	v_add_f64 v[0:1], v[0:1], v[64:65]
	v_add_f64 v[2:3], v[2:3], v[66:67]
	v_mul_f64 v[78:79], v[78:79], s[14:15]
	v_mul_f64 v[80:81], v[80:81], s[14:15]
	;; [unrolled: 1-line block ×6, first 2 shown]
	v_add_f64 v[12:13], v[18:19], v[22:23]
	v_add_f64 v[16:17], v[20:21], v[16:17]
	;; [unrolled: 1-line block ×4, first 2 shown]
	v_fma_f64 v[18:19], v[42:43], s[4:5], v[36:37]
	v_fma_f64 v[20:21], v[44:45], s[4:5], v[40:41]
	v_fma_f64 v[22:23], v[38:39], s[18:19], -v[56:57]
	v_fma_f64 v[34:35], v[54:55], s[18:19], -v[58:59]
	v_fma_f64 v[42:43], v[30:31], s[24:25], v[48:49]
	v_fma_f64 v[44:45], v[32:33], s[24:25], v[52:53]
	v_fma_f64 v[32:33], v[32:33], s[22:23], -v[96:97]
	v_fma_f64 v[36:37], v[38:39], s[20:21], -v[36:37]
	;; [unrolled: 1-line block ×6, first 2 shown]
	v_fma_f64 v[56:57], v[64:65], s[12:13], v[0:1]
	v_fma_f64 v[58:59], v[66:67], s[12:13], v[2:3]
	;; [unrolled: 1-line block ×6, first 2 shown]
	v_fma_f64 v[74:75], v[86:87], s[10:11], -v[82:83]
	v_fma_f64 v[76:77], v[88:89], s[10:11], -v[84:85]
	;; [unrolled: 1-line block ×4, first 2 shown]
	v_fma_f64 v[24:25], v[24:25], s[12:13], v[4:5]
	v_fma_f64 v[28:29], v[28:29], s[12:13], v[6:7]
	v_fma_f64 v[78:79], v[46:47], s[20:21], -v[78:79]
	v_fma_f64 v[80:81], v[50:51], s[20:21], -v[80:81]
	;; [unrolled: 1-line block ×4, first 2 shown]
	v_fma_f64 v[42:43], v[10:11], s[26:27], v[42:43]
	v_fma_f64 v[44:45], v[8:9], s[26:27], v[44:45]
	;; [unrolled: 1-line block ×6, first 2 shown]
	v_add_f64 v[60:61], v[18:19], v[56:57]
	v_add_f64 v[62:63], v[20:21], v[58:59]
	;; [unrolled: 1-line block ×6, first 2 shown]
	v_fma_f64 v[56:57], v[12:13], s[26:27], v[64:65]
	v_fma_f64 v[58:59], v[16:17], s[26:27], v[66:67]
	;; [unrolled: 1-line block ×6, first 2 shown]
	v_add_f64 v[82:83], v[40:41], v[24:25]
	v_add_f64 v[54:55], v[54:55], v[28:29]
	;; [unrolled: 1-line block ×7, first 2 shown]
	v_add_f64 v[10:11], v[62:63], -v[42:43]
	v_add_f64 v[12:13], v[32:33], v[36:37]
	v_add_f64 v[24:25], v[36:37], -v[32:33]
	v_add_f64 v[14:15], v[38:39], -v[30:31]
	v_add_f64 v[26:27], v[30:31], v[38:39]
	v_add_f64 v[16:17], v[20:21], -v[52:53]
	v_add_f64 v[18:19], v[48:49], v[22:23]
	v_add_f64 v[30:31], v[42:43], v[62:63]
	;; [unrolled: 1-line block ×3, first 2 shown]
	v_add_f64 v[22:23], v[22:23], -v[48:49]
	v_add_f64 v[28:29], v[60:61], -v[44:45]
	v_add_f64 v[32:33], v[58:59], v[82:83]
	v_add_f64 v[34:35], v[54:55], -v[56:57]
	v_add_f64 v[36:37], v[76:77], v[78:79]
	v_add_f64 v[38:39], v[80:81], -v[74:75]
	v_add_f64 v[40:41], v[46:47], -v[66:67]
	v_add_f64 v[42:43], v[64:65], v[50:51]
	v_add_f64 v[44:45], v[66:67], v[46:47]
	v_add_f64 v[46:47], v[50:51], -v[64:65]
	v_add_f64 v[48:49], v[78:79], -v[76:77]
	v_add_f64 v[50:51], v[74:75], v[80:81]
	v_add_f64 v[52:53], v[82:83], -v[58:59]
	v_add_f64 v[54:55], v[56:57], v[54:55]
	ds_store_b128 v106, v[0:3]
	ds_store_b128 v106, v[4:7] offset:1904
	ds_store_b128 v106, v[8:11] offset:3808
	;; [unrolled: 1-line block ×13, first 2 shown]
	s_waitcnt lgkmcnt(0)
	s_barrier
	buffer_gl0_inv
	s_and_saveexec_b32 s0, vcc_lo
	s_cbranch_execz .LBB0_23
; %bb.22:
	v_mul_lo_u32 v2, s3, v72
	v_mul_lo_u32 v3, s2, v73
	v_mad_u64_u32 v[0:1], null, s2, v72, 0
	v_dual_mov_b32 v71, 0 :: v_dual_add_nc_u32 v10, 0x77, v70
	v_lshlrev_b64 v[8:9], 4, v[68:69]
	v_lshl_add_u32 v34, v70, 4, 0
	s_delay_alu instid0(VALU_DEP_3) | instskip(SKIP_4) | instid1(VALU_DEP_4)
	v_dual_mov_b32 v11, v71 :: v_dual_add_nc_u32 v12, 0xee, v70
	v_add3_u32 v1, v1, v3, v2
	v_lshlrev_b64 v[14:15], 4, v[70:71]
	v_dual_mov_b32 v13, v71 :: v_dual_add_nc_u32 v22, 0x165, v70
	v_dual_mov_b32 v23, v71 :: v_dual_add_nc_u32 v24, 0x1dc, v70
	v_lshlrev_b64 v[16:17], 4, v[0:1]
	ds_load_b128 v[0:3], v34
	ds_load_b128 v[4:7], v34 offset:1904
	v_mov_b32_e32 v25, v71
	v_lshlrev_b64 v[22:23], 4, v[22:23]
	v_add_co_u32 v18, vcc_lo, s6, v16
	v_add_co_ci_u32_e32 v19, vcc_lo, s7, v17, vcc_lo
	v_lshlrev_b64 v[16:17], 4, v[10:11]
	s_delay_alu instid0(VALU_DEP_3) | instskip(NEXT) | instid1(VALU_DEP_3)
	v_add_co_u32 v36, vcc_lo, v18, v8
	v_add_co_ci_u32_e32 v37, vcc_lo, v19, v9, vcc_lo
	v_lshlrev_b64 v[18:19], 4, v[12:13]
	s_delay_alu instid0(VALU_DEP_3) | instskip(NEXT) | instid1(VALU_DEP_3)
	v_add_co_u32 v20, vcc_lo, v36, v14
	v_add_co_ci_u32_e32 v21, vcc_lo, v37, v15, vcc_lo
	ds_load_b128 v[8:11], v34 offset:3808
	ds_load_b128 v[12:15], v34 offset:5712
	v_add_co_u32 v16, vcc_lo, v36, v16
	v_add_co_ci_u32_e32 v17, vcc_lo, v37, v17, vcc_lo
	v_add_co_u32 v18, vcc_lo, v36, v18
	v_add_co_ci_u32_e32 v19, vcc_lo, v37, v19, vcc_lo
	;; [unrolled: 2-line block ×3, first 2 shown]
	s_waitcnt lgkmcnt(3)
	global_store_b128 v[20:21], v[0:3], off
	s_waitcnt lgkmcnt(2)
	global_store_b128 v[16:17], v[4:7], off
	s_waitcnt lgkmcnt(1)
	global_store_b128 v[18:19], v[8:11], off
	s_waitcnt lgkmcnt(0)
	global_store_b128 v[22:23], v[12:15], off
	v_add_nc_u32_e32 v8, 0x253, v70
	v_lshlrev_b64 v[0:1], 4, v[24:25]
	v_dual_mov_b32 v9, v71 :: v_dual_add_nc_u32 v10, 0x2ca, v70
	v_dual_mov_b32 v11, v71 :: v_dual_add_nc_u32 v22, 0x341, v70
	;; [unrolled: 1-line block ×3, first 2 shown]
	s_delay_alu instid0(VALU_DEP_4)
	v_add_co_u32 v16, vcc_lo, v36, v0
	v_add_co_ci_u32_e32 v17, vcc_lo, v37, v1, vcc_lo
	ds_load_b128 v[0:3], v34 offset:7616
	ds_load_b128 v[4:7], v34 offset:9520
	v_lshlrev_b64 v[18:19], 4, v[8:9]
	v_lshlrev_b64 v[20:21], 4, v[10:11]
	ds_load_b128 v[8:11], v34 offset:11424
	ds_load_b128 v[12:15], v34 offset:13328
	v_lshlrev_b64 v[22:23], 4, v[22:23]
	v_add_co_u32 v18, vcc_lo, v36, v18
	v_add_co_ci_u32_e32 v19, vcc_lo, v37, v19, vcc_lo
	v_add_co_u32 v20, vcc_lo, v36, v20
	v_add_co_ci_u32_e32 v21, vcc_lo, v37, v21, vcc_lo
	v_add_co_u32 v22, vcc_lo, v36, v22
	s_waitcnt lgkmcnt(3)
	global_store_b128 v[16:17], v[0:3], off
	s_waitcnt lgkmcnt(2)
	global_store_b128 v[18:19], v[4:7], off
	v_dual_mov_b32 v3, v71 :: v_dual_add_nc_u32 v2, 0x42f, v70
	v_add_co_ci_u32_e32 v23, vcc_lo, v37, v23, vcc_lo
	v_lshlrev_b64 v[0:1], 4, v[24:25]
	s_waitcnt lgkmcnt(1)
	global_store_b128 v[20:21], v[8:11], off
	s_waitcnt lgkmcnt(0)
	global_store_b128 v[22:23], v[12:15], off
	v_lshlrev_b64 v[8:9], 4, v[2:3]
	v_dual_mov_b32 v11, v71 :: v_dual_add_nc_u32 v10, 0x4a6, v70
	v_add_co_u32 v24, vcc_lo, v36, v0
	v_add_co_ci_u32_e32 v25, vcc_lo, v37, v1, vcc_lo
	s_delay_alu instid0(VALU_DEP_4)
	v_add_co_u32 v26, vcc_lo, v36, v8
	v_add_co_ci_u32_e32 v27, vcc_lo, v37, v9, vcc_lo
	v_lshlrev_b64 v[8:9], 4, v[10:11]
	v_dual_mov_b32 v17, v71 :: v_dual_add_nc_u32 v16, 0x51d, v70
	v_dual_mov_b32 v19, v71 :: v_dual_add_nc_u32 v18, 0x594, v70
	ds_load_b128 v[0:3], v34 offset:15232
	ds_load_b128 v[4:7], v34 offset:17136
	v_add_co_u32 v28, vcc_lo, v36, v8
	v_add_co_ci_u32_e32 v29, vcc_lo, v37, v9, vcc_lo
	ds_load_b128 v[8:11], v34 offset:19040
	ds_load_b128 v[12:15], v34 offset:20944
	v_lshlrev_b64 v[30:31], 4, v[16:17]
	v_lshlrev_b64 v[32:33], 4, v[18:19]
	ds_load_b128 v[16:19], v34 offset:22848
	ds_load_b128 v[20:23], v34 offset:24752
	v_add_nc_u32_e32 v70, 0x60b, v70
	v_add_co_u32 v30, vcc_lo, v36, v30
	s_delay_alu instid0(VALU_DEP_2) | instskip(SKIP_3) | instid1(VALU_DEP_4)
	v_lshlrev_b64 v[34:35], 4, v[70:71]
	v_add_co_ci_u32_e32 v31, vcc_lo, v37, v31, vcc_lo
	v_add_co_u32 v32, vcc_lo, v36, v32
	v_add_co_ci_u32_e32 v33, vcc_lo, v37, v33, vcc_lo
	v_add_co_u32 v34, vcc_lo, v36, v34
	v_add_co_ci_u32_e32 v35, vcc_lo, v37, v35, vcc_lo
	s_waitcnt lgkmcnt(5)
	global_store_b128 v[24:25], v[0:3], off
	s_waitcnt lgkmcnt(4)
	global_store_b128 v[26:27], v[4:7], off
	;; [unrolled: 2-line block ×6, first 2 shown]
.LBB0_23:
	s_nop 0
	s_sendmsg sendmsg(MSG_DEALLOC_VGPRS)
	s_endpgm
	.section	.rodata,"a",@progbits
	.p2align	6, 0x0
	.amdhsa_kernel fft_rtc_back_len1666_factors_17_2_7_7_wgs_119_tpt_119_halfLds_dp_op_CI_CI_unitstride_sbrr_C2R_dirReg
		.amdhsa_group_segment_fixed_size 0
		.amdhsa_private_segment_fixed_size 0
		.amdhsa_kernarg_size 104
		.amdhsa_user_sgpr_count 15
		.amdhsa_user_sgpr_dispatch_ptr 0
		.amdhsa_user_sgpr_queue_ptr 0
		.amdhsa_user_sgpr_kernarg_segment_ptr 1
		.amdhsa_user_sgpr_dispatch_id 0
		.amdhsa_user_sgpr_private_segment_size 0
		.amdhsa_wavefront_size32 1
		.amdhsa_uses_dynamic_stack 0
		.amdhsa_enable_private_segment 0
		.amdhsa_system_sgpr_workgroup_id_x 1
		.amdhsa_system_sgpr_workgroup_id_y 0
		.amdhsa_system_sgpr_workgroup_id_z 0
		.amdhsa_system_sgpr_workgroup_info 0
		.amdhsa_system_vgpr_workitem_id 0
		.amdhsa_next_free_vgpr 255
		.amdhsa_next_free_sgpr 56
		.amdhsa_reserve_vcc 1
		.amdhsa_float_round_mode_32 0
		.amdhsa_float_round_mode_16_64 0
		.amdhsa_float_denorm_mode_32 3
		.amdhsa_float_denorm_mode_16_64 3
		.amdhsa_dx10_clamp 1
		.amdhsa_ieee_mode 1
		.amdhsa_fp16_overflow 0
		.amdhsa_workgroup_processor_mode 1
		.amdhsa_memory_ordered 1
		.amdhsa_forward_progress 0
		.amdhsa_shared_vgpr_count 0
		.amdhsa_exception_fp_ieee_invalid_op 0
		.amdhsa_exception_fp_denorm_src 0
		.amdhsa_exception_fp_ieee_div_zero 0
		.amdhsa_exception_fp_ieee_overflow 0
		.amdhsa_exception_fp_ieee_underflow 0
		.amdhsa_exception_fp_ieee_inexact 0
		.amdhsa_exception_int_div_zero 0
	.end_amdhsa_kernel
	.text
.Lfunc_end0:
	.size	fft_rtc_back_len1666_factors_17_2_7_7_wgs_119_tpt_119_halfLds_dp_op_CI_CI_unitstride_sbrr_C2R_dirReg, .Lfunc_end0-fft_rtc_back_len1666_factors_17_2_7_7_wgs_119_tpt_119_halfLds_dp_op_CI_CI_unitstride_sbrr_C2R_dirReg
                                        ; -- End function
	.section	.AMDGPU.csdata,"",@progbits
; Kernel info:
; codeLenInByte = 16420
; NumSgprs: 58
; NumVgprs: 255
; ScratchSize: 0
; MemoryBound: 0
; FloatMode: 240
; IeeeMode: 1
; LDSByteSize: 0 bytes/workgroup (compile time only)
; SGPRBlocks: 7
; VGPRBlocks: 31
; NumSGPRsForWavesPerEU: 58
; NumVGPRsForWavesPerEU: 255
; Occupancy: 5
; WaveLimiterHint : 1
; COMPUTE_PGM_RSRC2:SCRATCH_EN: 0
; COMPUTE_PGM_RSRC2:USER_SGPR: 15
; COMPUTE_PGM_RSRC2:TRAP_HANDLER: 0
; COMPUTE_PGM_RSRC2:TGID_X_EN: 1
; COMPUTE_PGM_RSRC2:TGID_Y_EN: 0
; COMPUTE_PGM_RSRC2:TGID_Z_EN: 0
; COMPUTE_PGM_RSRC2:TIDIG_COMP_CNT: 0
	.text
	.p2alignl 7, 3214868480
	.fill 96, 4, 3214868480
	.type	__hip_cuid_9184f48c7906fa71,@object ; @__hip_cuid_9184f48c7906fa71
	.section	.bss,"aw",@nobits
	.globl	__hip_cuid_9184f48c7906fa71
__hip_cuid_9184f48c7906fa71:
	.byte	0                               ; 0x0
	.size	__hip_cuid_9184f48c7906fa71, 1

	.ident	"AMD clang version 19.0.0git (https://github.com/RadeonOpenCompute/llvm-project roc-6.4.0 25133 c7fe45cf4b819c5991fe208aaa96edf142730f1d)"
	.section	".note.GNU-stack","",@progbits
	.addrsig
	.addrsig_sym __hip_cuid_9184f48c7906fa71
	.amdgpu_metadata
---
amdhsa.kernels:
  - .args:
      - .actual_access:  read_only
        .address_space:  global
        .offset:         0
        .size:           8
        .value_kind:     global_buffer
      - .offset:         8
        .size:           8
        .value_kind:     by_value
      - .actual_access:  read_only
        .address_space:  global
        .offset:         16
        .size:           8
        .value_kind:     global_buffer
      - .actual_access:  read_only
        .address_space:  global
        .offset:         24
        .size:           8
        .value_kind:     global_buffer
      - .actual_access:  read_only
        .address_space:  global
        .offset:         32
        .size:           8
        .value_kind:     global_buffer
      - .offset:         40
        .size:           8
        .value_kind:     by_value
      - .actual_access:  read_only
        .address_space:  global
        .offset:         48
        .size:           8
        .value_kind:     global_buffer
      - .actual_access:  read_only
        .address_space:  global
        .offset:         56
        .size:           8
        .value_kind:     global_buffer
      - .offset:         64
        .size:           4
        .value_kind:     by_value
      - .actual_access:  read_only
        .address_space:  global
        .offset:         72
        .size:           8
        .value_kind:     global_buffer
      - .actual_access:  read_only
        .address_space:  global
        .offset:         80
        .size:           8
        .value_kind:     global_buffer
      - .actual_access:  read_only
        .address_space:  global
        .offset:         88
        .size:           8
        .value_kind:     global_buffer
      - .actual_access:  write_only
        .address_space:  global
        .offset:         96
        .size:           8
        .value_kind:     global_buffer
    .group_segment_fixed_size: 0
    .kernarg_segment_align: 8
    .kernarg_segment_size: 104
    .language:       OpenCL C
    .language_version:
      - 2
      - 0
    .max_flat_workgroup_size: 119
    .name:           fft_rtc_back_len1666_factors_17_2_7_7_wgs_119_tpt_119_halfLds_dp_op_CI_CI_unitstride_sbrr_C2R_dirReg
    .private_segment_fixed_size: 0
    .sgpr_count:     58
    .sgpr_spill_count: 0
    .symbol:         fft_rtc_back_len1666_factors_17_2_7_7_wgs_119_tpt_119_halfLds_dp_op_CI_CI_unitstride_sbrr_C2R_dirReg.kd
    .uniform_work_group_size: 1
    .uses_dynamic_stack: false
    .vgpr_count:     255
    .vgpr_spill_count: 0
    .wavefront_size: 32
    .workgroup_processor_mode: 1
amdhsa.target:   amdgcn-amd-amdhsa--gfx1100
amdhsa.version:
  - 1
  - 2
...

	.end_amdgpu_metadata
